;; amdgpu-corpus repo=ROCm/rocFFT kind=compiled arch=gfx1201 opt=O3
	.text
	.amdgcn_target "amdgcn-amd-amdhsa--gfx1201"
	.amdhsa_code_object_version 6
	.protected	fft_rtc_back_len1632_factors_17_2_2_3_8_wgs_102_tpt_102_halfLds_sp_op_CI_CI_unitstride_sbrr_C2R_dirReg ; -- Begin function fft_rtc_back_len1632_factors_17_2_2_3_8_wgs_102_tpt_102_halfLds_sp_op_CI_CI_unitstride_sbrr_C2R_dirReg
	.globl	fft_rtc_back_len1632_factors_17_2_2_3_8_wgs_102_tpt_102_halfLds_sp_op_CI_CI_unitstride_sbrr_C2R_dirReg
	.p2align	8
	.type	fft_rtc_back_len1632_factors_17_2_2_3_8_wgs_102_tpt_102_halfLds_sp_op_CI_CI_unitstride_sbrr_C2R_dirReg,@function
fft_rtc_back_len1632_factors_17_2_2_3_8_wgs_102_tpt_102_halfLds_sp_op_CI_CI_unitstride_sbrr_C2R_dirReg: ; @fft_rtc_back_len1632_factors_17_2_2_3_8_wgs_102_tpt_102_halfLds_sp_op_CI_CI_unitstride_sbrr_C2R_dirReg
; %bb.0:
	s_clause 0x2
	s_load_b128 s[8:11], s[0:1], 0x0
	s_load_b128 s[4:7], s[0:1], 0x58
	;; [unrolled: 1-line block ×3, first 2 shown]
	v_mul_u32_u24_e32 v1, 0x283, v0
	v_mov_b32_e32 v3, 0
	s_delay_alu instid0(VALU_DEP_2) | instskip(NEXT) | instid1(VALU_DEP_1)
	v_lshrrev_b32_e32 v1, 16, v1
	v_add_nc_u32_e32 v5, ttmp9, v1
	v_mov_b32_e32 v1, 0
	v_mov_b32_e32 v2, 0
	;; [unrolled: 1-line block ×3, first 2 shown]
	s_wait_kmcnt 0x0
	v_cmp_lt_u64_e64 s2, s[10:11], 2
	s_delay_alu instid0(VALU_DEP_1)
	s_and_b32 vcc_lo, exec_lo, s2
	s_cbranch_vccnz .LBB0_8
; %bb.1:
	s_load_b64 s[2:3], s[0:1], 0x10
	v_mov_b32_e32 v1, 0
	v_mov_b32_e32 v2, 0
	s_add_nc_u64 s[16:17], s[14:15], 8
	s_add_nc_u64 s[18:19], s[12:13], 8
	s_mov_b64 s[20:21], 1
	s_delay_alu instid0(VALU_DEP_1)
	v_dual_mov_b32 v33, v2 :: v_dual_mov_b32 v32, v1
	s_wait_kmcnt 0x0
	s_add_nc_u64 s[22:23], s[2:3], 8
	s_mov_b32 s3, 0
.LBB0_2:                                ; =>This Inner Loop Header: Depth=1
	s_load_b64 s[24:25], s[22:23], 0x0
                                        ; implicit-def: $vgpr36_vgpr37
	s_mov_b32 s2, exec_lo
	s_wait_kmcnt 0x0
	v_or_b32_e32 v4, s25, v6
	s_delay_alu instid0(VALU_DEP_1)
	v_cmpx_ne_u64_e32 0, v[3:4]
	s_wait_alu 0xfffe
	s_xor_b32 s26, exec_lo, s2
	s_cbranch_execz .LBB0_4
; %bb.3:                                ;   in Loop: Header=BB0_2 Depth=1
	s_cvt_f32_u32 s2, s24
	s_cvt_f32_u32 s27, s25
	s_sub_nc_u64 s[30:31], 0, s[24:25]
	s_wait_alu 0xfffe
	s_delay_alu instid0(SALU_CYCLE_1) | instskip(SKIP_1) | instid1(SALU_CYCLE_2)
	s_fmamk_f32 s2, s27, 0x4f800000, s2
	s_wait_alu 0xfffe
	v_s_rcp_f32 s2, s2
	s_delay_alu instid0(TRANS32_DEP_1) | instskip(SKIP_1) | instid1(SALU_CYCLE_2)
	s_mul_f32 s2, s2, 0x5f7ffffc
	s_wait_alu 0xfffe
	s_mul_f32 s27, s2, 0x2f800000
	s_wait_alu 0xfffe
	s_delay_alu instid0(SALU_CYCLE_2) | instskip(SKIP_1) | instid1(SALU_CYCLE_2)
	s_trunc_f32 s27, s27
	s_wait_alu 0xfffe
	s_fmamk_f32 s2, s27, 0xcf800000, s2
	s_cvt_u32_f32 s29, s27
	s_wait_alu 0xfffe
	s_delay_alu instid0(SALU_CYCLE_1) | instskip(SKIP_1) | instid1(SALU_CYCLE_2)
	s_cvt_u32_f32 s28, s2
	s_wait_alu 0xfffe
	s_mul_u64 s[34:35], s[30:31], s[28:29]
	s_wait_alu 0xfffe
	s_mul_hi_u32 s37, s28, s35
	s_mul_i32 s36, s28, s35
	s_mul_hi_u32 s2, s28, s34
	s_mul_i32 s33, s29, s34
	s_wait_alu 0xfffe
	s_add_nc_u64 s[36:37], s[2:3], s[36:37]
	s_mul_hi_u32 s27, s29, s34
	s_mul_hi_u32 s38, s29, s35
	s_add_co_u32 s2, s36, s33
	s_wait_alu 0xfffe
	s_add_co_ci_u32 s2, s37, s27
	s_mul_i32 s34, s29, s35
	s_add_co_ci_u32 s35, s38, 0
	s_wait_alu 0xfffe
	s_add_nc_u64 s[34:35], s[2:3], s[34:35]
	s_wait_alu 0xfffe
	v_add_co_u32 v4, s2, s28, s34
	s_delay_alu instid0(VALU_DEP_1) | instskip(SKIP_1) | instid1(VALU_DEP_1)
	s_cmp_lg_u32 s2, 0
	s_add_co_ci_u32 s29, s29, s35
	v_readfirstlane_b32 s28, v4
	s_wait_alu 0xfffe
	s_delay_alu instid0(VALU_DEP_1)
	s_mul_u64 s[30:31], s[30:31], s[28:29]
	s_wait_alu 0xfffe
	s_mul_hi_u32 s35, s28, s31
	s_mul_i32 s34, s28, s31
	s_mul_hi_u32 s2, s28, s30
	s_mul_i32 s33, s29, s30
	s_wait_alu 0xfffe
	s_add_nc_u64 s[34:35], s[2:3], s[34:35]
	s_mul_hi_u32 s27, s29, s30
	s_mul_hi_u32 s28, s29, s31
	s_wait_alu 0xfffe
	s_add_co_u32 s2, s34, s33
	s_add_co_ci_u32 s2, s35, s27
	s_mul_i32 s30, s29, s31
	s_add_co_ci_u32 s31, s28, 0
	s_wait_alu 0xfffe
	s_add_nc_u64 s[30:31], s[2:3], s[30:31]
	s_wait_alu 0xfffe
	v_add_co_u32 v4, s2, v4, s30
	s_delay_alu instid0(VALU_DEP_1) | instskip(SKIP_1) | instid1(VALU_DEP_1)
	s_cmp_lg_u32 s2, 0
	s_add_co_ci_u32 s2, s29, s31
	v_mul_hi_u32 v13, v5, v4
	s_wait_alu 0xfffe
	v_mad_co_u64_u32 v[7:8], null, v5, s2, 0
	v_mad_co_u64_u32 v[9:10], null, v6, v4, 0
	;; [unrolled: 1-line block ×3, first 2 shown]
	s_delay_alu instid0(VALU_DEP_3) | instskip(SKIP_1) | instid1(VALU_DEP_4)
	v_add_co_u32 v4, vcc_lo, v13, v7
	s_wait_alu 0xfffd
	v_add_co_ci_u32_e32 v7, vcc_lo, 0, v8, vcc_lo
	s_delay_alu instid0(VALU_DEP_2) | instskip(SKIP_1) | instid1(VALU_DEP_2)
	v_add_co_u32 v4, vcc_lo, v4, v9
	s_wait_alu 0xfffd
	v_add_co_ci_u32_e32 v4, vcc_lo, v7, v10, vcc_lo
	s_wait_alu 0xfffd
	v_add_co_ci_u32_e32 v7, vcc_lo, 0, v12, vcc_lo
	s_delay_alu instid0(VALU_DEP_2) | instskip(SKIP_1) | instid1(VALU_DEP_2)
	v_add_co_u32 v4, vcc_lo, v4, v11
	s_wait_alu 0xfffd
	v_add_co_ci_u32_e32 v9, vcc_lo, 0, v7, vcc_lo
	s_delay_alu instid0(VALU_DEP_2) | instskip(SKIP_1) | instid1(VALU_DEP_3)
	v_mul_lo_u32 v10, s25, v4
	v_mad_co_u64_u32 v[7:8], null, s24, v4, 0
	v_mul_lo_u32 v11, s24, v9
	s_delay_alu instid0(VALU_DEP_2) | instskip(NEXT) | instid1(VALU_DEP_2)
	v_sub_co_u32 v7, vcc_lo, v5, v7
	v_add3_u32 v8, v8, v11, v10
	s_delay_alu instid0(VALU_DEP_1) | instskip(SKIP_1) | instid1(VALU_DEP_1)
	v_sub_nc_u32_e32 v10, v6, v8
	s_wait_alu 0xfffd
	v_subrev_co_ci_u32_e64 v10, s2, s25, v10, vcc_lo
	v_add_co_u32 v11, s2, v4, 2
	s_wait_alu 0xf1ff
	v_add_co_ci_u32_e64 v12, s2, 0, v9, s2
	v_sub_co_u32 v13, s2, v7, s24
	v_sub_co_ci_u32_e32 v8, vcc_lo, v6, v8, vcc_lo
	s_wait_alu 0xf1ff
	v_subrev_co_ci_u32_e64 v10, s2, 0, v10, s2
	s_delay_alu instid0(VALU_DEP_3) | instskip(NEXT) | instid1(VALU_DEP_3)
	v_cmp_le_u32_e32 vcc_lo, s24, v13
	v_cmp_eq_u32_e64 s2, s25, v8
	s_wait_alu 0xfffd
	v_cndmask_b32_e64 v13, 0, -1, vcc_lo
	v_cmp_le_u32_e32 vcc_lo, s25, v10
	s_wait_alu 0xfffd
	v_cndmask_b32_e64 v14, 0, -1, vcc_lo
	v_cmp_le_u32_e32 vcc_lo, s24, v7
	;; [unrolled: 3-line block ×3, first 2 shown]
	s_wait_alu 0xfffd
	v_cndmask_b32_e64 v15, 0, -1, vcc_lo
	v_cmp_eq_u32_e32 vcc_lo, s25, v10
	s_wait_alu 0xf1ff
	s_delay_alu instid0(VALU_DEP_2)
	v_cndmask_b32_e64 v7, v15, v7, s2
	s_wait_alu 0xfffd
	v_cndmask_b32_e32 v10, v14, v13, vcc_lo
	v_add_co_u32 v13, vcc_lo, v4, 1
	s_wait_alu 0xfffd
	v_add_co_ci_u32_e32 v14, vcc_lo, 0, v9, vcc_lo
	s_delay_alu instid0(VALU_DEP_3) | instskip(SKIP_1) | instid1(VALU_DEP_2)
	v_cmp_ne_u32_e32 vcc_lo, 0, v10
	s_wait_alu 0xfffd
	v_cndmask_b32_e32 v8, v14, v12, vcc_lo
	v_cndmask_b32_e32 v10, v13, v11, vcc_lo
	v_cmp_ne_u32_e32 vcc_lo, 0, v7
	s_wait_alu 0xfffd
	s_delay_alu instid0(VALU_DEP_2)
	v_dual_cndmask_b32 v37, v9, v8 :: v_dual_cndmask_b32 v36, v4, v10
.LBB0_4:                                ;   in Loop: Header=BB0_2 Depth=1
	s_wait_alu 0xfffe
	s_and_not1_saveexec_b32 s2, s26
	s_cbranch_execz .LBB0_6
; %bb.5:                                ;   in Loop: Header=BB0_2 Depth=1
	v_cvt_f32_u32_e32 v4, s24
	s_sub_co_i32 s26, 0, s24
	v_mov_b32_e32 v37, v3
	s_delay_alu instid0(VALU_DEP_2) | instskip(NEXT) | instid1(TRANS32_DEP_1)
	v_rcp_iflag_f32_e32 v4, v4
	v_mul_f32_e32 v4, 0x4f7ffffe, v4
	s_delay_alu instid0(VALU_DEP_1) | instskip(SKIP_1) | instid1(VALU_DEP_1)
	v_cvt_u32_f32_e32 v4, v4
	s_wait_alu 0xfffe
	v_mul_lo_u32 v7, s26, v4
	s_delay_alu instid0(VALU_DEP_1) | instskip(NEXT) | instid1(VALU_DEP_1)
	v_mul_hi_u32 v7, v4, v7
	v_add_nc_u32_e32 v4, v4, v7
	s_delay_alu instid0(VALU_DEP_1) | instskip(NEXT) | instid1(VALU_DEP_1)
	v_mul_hi_u32 v4, v5, v4
	v_mul_lo_u32 v7, v4, s24
	v_add_nc_u32_e32 v8, 1, v4
	s_delay_alu instid0(VALU_DEP_2) | instskip(NEXT) | instid1(VALU_DEP_1)
	v_sub_nc_u32_e32 v7, v5, v7
	v_subrev_nc_u32_e32 v9, s24, v7
	v_cmp_le_u32_e32 vcc_lo, s24, v7
	s_wait_alu 0xfffd
	s_delay_alu instid0(VALU_DEP_2) | instskip(NEXT) | instid1(VALU_DEP_1)
	v_dual_cndmask_b32 v7, v7, v9 :: v_dual_cndmask_b32 v4, v4, v8
	v_cmp_le_u32_e32 vcc_lo, s24, v7
	s_delay_alu instid0(VALU_DEP_2) | instskip(SKIP_1) | instid1(VALU_DEP_1)
	v_add_nc_u32_e32 v8, 1, v4
	s_wait_alu 0xfffd
	v_cndmask_b32_e32 v36, v4, v8, vcc_lo
.LBB0_6:                                ;   in Loop: Header=BB0_2 Depth=1
	s_wait_alu 0xfffe
	s_or_b32 exec_lo, exec_lo, s2
	v_mul_lo_u32 v4, v37, s24
	s_delay_alu instid0(VALU_DEP_2)
	v_mul_lo_u32 v9, v36, s25
	s_load_b64 s[26:27], s[18:19], 0x0
	v_mad_co_u64_u32 v[7:8], null, v36, s24, 0
	s_load_b64 s[24:25], s[16:17], 0x0
	s_add_nc_u64 s[20:21], s[20:21], 1
	s_add_nc_u64 s[16:17], s[16:17], 8
	s_wait_alu 0xfffe
	v_cmp_ge_u64_e64 s2, s[20:21], s[10:11]
	s_add_nc_u64 s[18:19], s[18:19], 8
	s_add_nc_u64 s[22:23], s[22:23], 8
	v_add3_u32 v4, v8, v9, v4
	v_sub_co_u32 v5, vcc_lo, v5, v7
	s_wait_alu 0xfffd
	s_delay_alu instid0(VALU_DEP_2) | instskip(SKIP_2) | instid1(VALU_DEP_1)
	v_sub_co_ci_u32_e32 v4, vcc_lo, v6, v4, vcc_lo
	s_and_b32 vcc_lo, exec_lo, s2
	s_wait_kmcnt 0x0
	v_mul_lo_u32 v6, s26, v4
	v_mul_lo_u32 v7, s27, v5
	v_mad_co_u64_u32 v[1:2], null, s26, v5, v[1:2]
	v_mul_lo_u32 v4, s24, v4
	v_mul_lo_u32 v8, s25, v5
	v_mad_co_u64_u32 v[32:33], null, s24, v5, v[32:33]
	s_delay_alu instid0(VALU_DEP_4) | instskip(NEXT) | instid1(VALU_DEP_2)
	v_add3_u32 v2, v7, v2, v6
	v_add3_u32 v33, v8, v33, v4
	s_wait_alu 0xfffe
	s_cbranch_vccnz .LBB0_9
; %bb.7:                                ;   in Loop: Header=BB0_2 Depth=1
	v_dual_mov_b32 v5, v36 :: v_dual_mov_b32 v6, v37
	s_branch .LBB0_2
.LBB0_8:
	v_dual_mov_b32 v33, v2 :: v_dual_mov_b32 v32, v1
	v_dual_mov_b32 v37, v6 :: v_dual_mov_b32 v36, v5
.LBB0_9:
	s_load_b64 s[0:1], s[0:1], 0x28
	v_mul_hi_u32 v3, 0x2828283, v0
	s_lshl_b64 s[10:11], s[10:11], 3
                                        ; implicit-def: $vgpr34
	s_wait_alu 0xfffe
	s_add_nc_u64 s[2:3], s[14:15], s[10:11]
	s_wait_kmcnt 0x0
	v_cmp_gt_u64_e32 vcc_lo, s[0:1], v[36:37]
	v_cmp_le_u64_e64 s0, s[0:1], v[36:37]
	s_delay_alu instid0(VALU_DEP_1)
	s_and_saveexec_b32 s1, s0
	s_wait_alu 0xfffe
	s_xor_b32 s0, exec_lo, s1
; %bb.10:
	v_mul_u32_u24_e32 v1, 0x66, v3
                                        ; implicit-def: $vgpr3
	s_delay_alu instid0(VALU_DEP_1)
	v_sub_nc_u32_e32 v34, v0, v1
                                        ; implicit-def: $vgpr0
                                        ; implicit-def: $vgpr1_vgpr2
; %bb.11:
	s_wait_alu 0xfffe
	s_or_saveexec_b32 s1, s0
	s_load_b64 s[2:3], s[2:3], 0x0
	s_xor_b32 exec_lo, exec_lo, s1
	s_cbranch_execz .LBB0_15
; %bb.12:
	s_add_nc_u64 s[10:11], s[12:13], s[10:11]
	v_lshlrev_b64_e32 v[1:2], 3, v[1:2]
	s_load_b64 s[10:11], s[10:11], 0x0
	s_wait_kmcnt 0x0
	v_mul_lo_u32 v6, s11, v36
	v_mul_lo_u32 v7, s10, v37
	v_mad_co_u64_u32 v[4:5], null, s10, v36, 0
	s_delay_alu instid0(VALU_DEP_1) | instskip(SKIP_1) | instid1(VALU_DEP_2)
	v_add3_u32 v5, v5, v7, v6
	v_mul_u32_u24_e32 v6, 0x66, v3
	v_lshlrev_b64_e32 v[3:4], 3, v[4:5]
	s_delay_alu instid0(VALU_DEP_2) | instskip(NEXT) | instid1(VALU_DEP_1)
	v_sub_nc_u32_e32 v34, v0, v6
	v_lshlrev_b32_e32 v35, 3, v34
	s_delay_alu instid0(VALU_DEP_3) | instskip(SKIP_1) | instid1(VALU_DEP_4)
	v_add_co_u32 v0, s0, s4, v3
	s_wait_alu 0xf1ff
	v_add_co_ci_u32_e64 v3, s0, s5, v4, s0
	s_mov_b32 s4, exec_lo
	s_delay_alu instid0(VALU_DEP_2) | instskip(SKIP_1) | instid1(VALU_DEP_2)
	v_add_co_u32 v0, s0, v0, v1
	s_wait_alu 0xf1ff
	v_add_co_ci_u32_e64 v1, s0, v3, v2, s0
	s_delay_alu instid0(VALU_DEP_2) | instskip(SKIP_1) | instid1(VALU_DEP_2)
	v_add_co_u32 v2, s0, v0, v35
	s_wait_alu 0xf1ff
	v_add_co_ci_u32_e64 v3, s0, 0, v1, s0
	s_clause 0xf
	global_load_b64 v[4:5], v[2:3], off
	global_load_b64 v[6:7], v[2:3], off offset:816
	global_load_b64 v[8:9], v[2:3], off offset:1632
	;; [unrolled: 1-line block ×15, first 2 shown]
	v_add_nc_u32_e32 v35, 0, v35
	s_delay_alu instid0(VALU_DEP_1)
	v_add_nc_u32_e32 v40, 0x400, v35
	v_add_nc_u32_e32 v41, 0x800, v35
	;; [unrolled: 1-line block ×7, first 2 shown]
	s_wait_loadcnt 0xe
	ds_store_2addr_b64 v35, v[4:5], v[6:7] offset1:102
	s_wait_loadcnt 0xc
	ds_store_2addr_b64 v40, v[8:9], v[10:11] offset0:76 offset1:178
	s_wait_loadcnt 0xa
	ds_store_2addr_b64 v41, v[12:13], v[14:15] offset0:152 offset1:254
	s_wait_loadcnt 0x8
	ds_store_2addr_b64 v42, v[16:17], v[18:19] offset0:100 offset1:202
	s_wait_loadcnt 0x6
	ds_store_2addr_b64 v43, v[20:21], v[22:23] offset0:48 offset1:150
	s_wait_loadcnt 0x4
	ds_store_2addr_b64 v44, v[24:25], v[26:27] offset0:124 offset1:226
	s_wait_loadcnt 0x2
	ds_store_2addr_b64 v45, v[28:29], v[30:31] offset0:72 offset1:174
	s_wait_loadcnt 0x0
	ds_store_2addr_b64 v46, v[38:39], v[2:3] offset0:148 offset1:250
	v_cmpx_eq_u32_e32 0x65, v34
	s_cbranch_execz .LBB0_14
; %bb.13:
	global_load_b64 v[0:1], v[0:1], off offset:13056
	v_mov_b32_e32 v2, 0
	v_mov_b32_e32 v34, 0x65
	s_wait_loadcnt 0x0
	ds_store_b64 v2, v[0:1] offset:13056
.LBB0_14:
	s_wait_alu 0xfffe
	s_or_b32 exec_lo, exec_lo, s4
.LBB0_15:
	s_delay_alu instid0(SALU_CYCLE_1)
	s_or_b32 exec_lo, exec_lo, s1
	v_lshlrev_b32_e32 v0, 3, v34
	global_wb scope:SCOPE_SE
	s_wait_dscnt 0x0
	s_wait_kmcnt 0x0
	s_barrier_signal -1
	s_barrier_wait -1
	global_inv scope:SCOPE_SE
	v_add_nc_u32_e32 v46, 0, v0
	v_sub_nc_u32_e32 v4, 0, v0
	s_mov_b32 s1, exec_lo
                                        ; implicit-def: $vgpr2_vgpr3
	ds_load_b32 v5, v46
	ds_load_b32 v6, v4 offset:13056
	s_wait_dscnt 0x0
	v_dual_sub_f32 v1, v5, v6 :: v_dual_add_f32 v0, v6, v5
	v_cmpx_ne_u32_e32 0, v34
	s_wait_alu 0xfffe
	s_xor_b32 s1, exec_lo, s1
	s_cbranch_execz .LBB0_17
; %bb.16:
	v_dual_mov_b32 v35, 0 :: v_dual_sub_f32 v8, v5, v6
	s_delay_alu instid0(VALU_DEP_1) | instskip(NEXT) | instid1(VALU_DEP_1)
	v_lshlrev_b64_e32 v[0:1], 3, v[34:35]
	v_add_co_u32 v0, s0, s8, v0
	s_wait_alu 0xf1ff
	s_delay_alu instid0(VALU_DEP_2)
	v_add_co_ci_u32_e64 v1, s0, s9, v1, s0
	global_load_b64 v[2:3], v[0:1], off offset:12920
	ds_load_b32 v0, v4 offset:13060
	ds_load_b32 v1, v46 offset:4
	v_add_f32_e32 v7, v6, v5
	s_wait_dscnt 0x0
	v_dual_add_f32 v9, v0, v1 :: v_dual_sub_f32 v0, v1, v0
	s_wait_loadcnt 0x0
	s_delay_alu instid0(VALU_DEP_2) | instskip(NEXT) | instid1(VALU_DEP_2)
	v_fma_f32 v5, -v8, v3, v7
	v_fma_f32 v6, v9, v3, -v0
	v_fma_f32 v10, v8, v3, v7
	v_fma_f32 v1, v9, v3, v0
	s_delay_alu instid0(VALU_DEP_3) | instskip(NEXT) | instid1(VALU_DEP_3)
	v_dual_fmac_f32 v5, v2, v9 :: v_dual_fmac_f32 v6, v8, v2
	v_fma_f32 v0, -v2, v9, v10
	s_delay_alu instid0(VALU_DEP_3)
	v_dual_fmac_f32 v1, v8, v2 :: v_dual_mov_b32 v2, v34
	v_mov_b32_e32 v3, v35
	ds_store_b64 v4, v[5:6] offset:13056
.LBB0_17:
	s_wait_alu 0xfffe
	s_and_not1_saveexec_b32 s0, s1
	s_cbranch_execz .LBB0_19
; %bb.18:
	v_mov_b32_e32 v7, 0
	ds_load_b64 v[2:3], v7 offset:6528
	s_wait_dscnt 0x0
	v_dual_mul_f32 v6, -2.0, v3 :: v_dual_add_f32 v5, v2, v2
	v_mov_b32_e32 v2, 0
	v_mov_b32_e32 v3, 0
	ds_store_b64 v7, v[5:6] offset:6528
.LBB0_19:
	s_wait_alu 0xfffe
	s_or_b32 exec_lo, exec_lo, s0
	v_lshlrev_b64_e32 v[2:3], 3, v[2:3]
	s_add_nc_u64 s[0:1], s[8:9], 0x3278
	v_add_nc_u32_e32 v35, 0x400, v46
	v_add_nc_u32_e32 v47, 0x2800, v46
	;; [unrolled: 1-line block ×4, first 2 shown]
	s_wait_alu 0xfffe
	v_add_co_u32 v2, s0, s0, v2
	s_wait_alu 0xf1ff
	v_add_co_ci_u32_e64 v3, s0, s1, v3, s0
	s_mov_b32 s1, exec_lo
	s_clause 0x6
	global_load_b64 v[5:6], v[2:3], off offset:816
	global_load_b64 v[7:8], v[2:3], off offset:1632
	global_load_b64 v[9:10], v[2:3], off offset:2448
	global_load_b64 v[11:12], v[2:3], off offset:3264
	global_load_b64 v[13:14], v[2:3], off offset:4080
	global_load_b64 v[15:16], v[2:3], off offset:4896
	global_load_b64 v[2:3], v[2:3], off offset:5712
	ds_store_b64 v46, v[0:1]
	ds_load_b64 v[0:1], v46 offset:816
	ds_load_b64 v[17:18], v4 offset:12240
	v_add_nc_u32_e32 v50, 0x2000, v46
	v_add_nc_u32_e32 v48, 0x1800, v46
	s_wait_dscnt 0x0
	v_dual_add_f32 v19, v0, v17 :: v_dual_add_nc_u32 v52, 0x1c00, v46
	v_add_f32_e32 v20, v18, v1
	v_dual_sub_f32 v21, v0, v17 :: v_dual_sub_f32 v0, v1, v18
	s_wait_loadcnt 0x6
	s_delay_alu instid0(VALU_DEP_1) | instskip(NEXT) | instid1(VALU_DEP_2)
	v_fma_f32 v22, v21, v6, v19
	v_fma_f32 v1, v20, v6, v0
	v_fma_f32 v17, -v21, v6, v19
	v_fma_f32 v18, v20, v6, -v0
	s_delay_alu instid0(VALU_DEP_4) | instskip(NEXT) | instid1(VALU_DEP_4)
	v_fma_f32 v0, -v5, v20, v22
	v_fmac_f32_e32 v1, v21, v5
	s_delay_alu instid0(VALU_DEP_4) | instskip(NEXT) | instid1(VALU_DEP_4)
	v_fmac_f32_e32 v17, v5, v20
	v_fmac_f32_e32 v18, v21, v5
	ds_store_b64 v46, v[0:1] offset:816
	ds_store_b64 v4, v[17:18] offset:12240
	ds_load_b64 v[0:1], v46 offset:1632
	ds_load_b64 v[5:6], v4 offset:11424
	s_wait_dscnt 0x0
	v_add_f32_e32 v17, v0, v5
	v_add_f32_e32 v18, v6, v1
	v_dual_sub_f32 v19, v0, v5 :: v_dual_sub_f32 v0, v1, v6
	s_wait_loadcnt 0x5
	s_delay_alu instid0(VALU_DEP_1) | instskip(NEXT) | instid1(VALU_DEP_2)
	v_fma_f32 v20, v19, v8, v17
	v_fma_f32 v1, v18, v8, v0
	v_fma_f32 v5, -v19, v8, v17
	v_fma_f32 v6, v18, v8, -v0
	s_delay_alu instid0(VALU_DEP_4) | instskip(NEXT) | instid1(VALU_DEP_4)
	v_fma_f32 v0, -v7, v18, v20
	v_fmac_f32_e32 v1, v19, v7
	s_delay_alu instid0(VALU_DEP_4) | instskip(NEXT) | instid1(VALU_DEP_4)
	v_fmac_f32_e32 v5, v7, v18
	v_fmac_f32_e32 v6, v19, v7
	ds_store_b64 v46, v[0:1] offset:1632
	ds_store_b64 v4, v[5:6] offset:11424
	ds_load_b64 v[0:1], v46 offset:2448
	ds_load_b64 v[5:6], v4 offset:10608
	s_wait_dscnt 0x0
	v_add_f32_e32 v8, v6, v1
	;; [unrolled: 20-line block ×3, first 2 shown]
	v_add_f32_e32 v8, v6, v1
	v_dual_sub_f32 v9, v0, v5 :: v_dual_sub_f32 v0, v1, v6
	s_wait_loadcnt 0x3
	s_delay_alu instid0(VALU_DEP_1) | instskip(NEXT) | instid1(VALU_DEP_2)
	v_fma_f32 v10, v9, v12, v7
	v_fma_f32 v1, v8, v12, v0
	v_fma_f32 v5, -v9, v12, v7
	v_fma_f32 v6, v8, v12, -v0
	s_delay_alu instid0(VALU_DEP_4) | instskip(NEXT) | instid1(VALU_DEP_4)
	v_fma_f32 v0, -v11, v8, v10
	v_fmac_f32_e32 v1, v9, v11
	s_delay_alu instid0(VALU_DEP_3)
	v_dual_fmac_f32 v5, v11, v8 :: v_dual_fmac_f32 v6, v9, v11
	ds_store_b64 v46, v[0:1] offset:3264
	ds_store_b64 v4, v[5:6] offset:9792
	ds_load_b64 v[0:1], v46 offset:4080
	ds_load_b64 v[5:6], v4 offset:8976
	s_wait_dscnt 0x0
	v_add_f32_e32 v7, v0, v5
	v_add_f32_e32 v8, v6, v1
	v_dual_sub_f32 v9, v0, v5 :: v_dual_sub_f32 v0, v1, v6
	s_wait_loadcnt 0x2
	s_delay_alu instid0(VALU_DEP_1) | instskip(NEXT) | instid1(VALU_DEP_2)
	v_fma_f32 v10, v9, v14, v7
	v_fma_f32 v1, v8, v14, v0
	v_fma_f32 v5, -v9, v14, v7
	v_fma_f32 v6, v8, v14, -v0
	s_delay_alu instid0(VALU_DEP_4) | instskip(NEXT) | instid1(VALU_DEP_4)
	v_fma_f32 v0, -v13, v8, v10
	v_fmac_f32_e32 v1, v9, v13
	s_delay_alu instid0(VALU_DEP_4) | instskip(NEXT) | instid1(VALU_DEP_4)
	v_fmac_f32_e32 v5, v13, v8
	v_fmac_f32_e32 v6, v9, v13
	ds_store_b64 v46, v[0:1] offset:4080
	ds_store_b64 v4, v[5:6] offset:8976
	ds_load_b64 v[0:1], v46 offset:4896
	ds_load_b64 v[5:6], v4 offset:8160
	s_wait_dscnt 0x0
	v_add_f32_e32 v7, v0, v5
	v_add_f32_e32 v8, v6, v1
	v_dual_sub_f32 v9, v0, v5 :: v_dual_sub_f32 v0, v1, v6
	s_wait_loadcnt 0x1
	s_delay_alu instid0(VALU_DEP_1) | instskip(NEXT) | instid1(VALU_DEP_2)
	v_fma_f32 v10, v9, v16, v7
	v_fma_f32 v1, v8, v16, v0
	v_fma_f32 v5, -v9, v16, v7
	v_fma_f32 v6, v8, v16, -v0
	s_delay_alu instid0(VALU_DEP_4) | instskip(NEXT) | instid1(VALU_DEP_4)
	v_fma_f32 v0, -v15, v8, v10
	v_fmac_f32_e32 v1, v9, v15
	s_delay_alu instid0(VALU_DEP_3)
	v_dual_fmac_f32 v5, v15, v8 :: v_dual_fmac_f32 v6, v9, v15
	ds_store_b64 v46, v[0:1] offset:4896
	ds_store_b64 v4, v[5:6] offset:8160
	ds_load_b64 v[0:1], v46 offset:5712
	ds_load_b64 v[5:6], v4 offset:7344
	s_wait_dscnt 0x0
	v_add_f32_e32 v7, v0, v5
	v_sub_f32_e32 v9, v0, v5
	v_add_f32_e32 v8, v6, v1
	v_sub_f32_e32 v0, v1, v6
	s_wait_loadcnt 0x0
	s_delay_alu instid0(VALU_DEP_3) | instskip(SKIP_1) | instid1(VALU_DEP_3)
	v_fma_f32 v10, v9, v3, v7
	v_fma_f32 v5, -v9, v3, v7
	v_fma_f32 v1, v8, v3, v0
	s_delay_alu instid0(VALU_DEP_1) | instskip(SKIP_2) | instid1(VALU_DEP_2)
	v_fmac_f32_e32 v1, v9, v2
	v_fma_f32 v6, v8, v3, -v0
	v_fma_f32 v0, -v2, v8, v10
	v_dual_fmac_f32 v5, v2, v8 :: v_dual_fmac_f32 v6, v9, v2
	ds_store_b64 v46, v[0:1] offset:5712
	ds_store_b64 v4, v[5:6] offset:7344
	global_wb scope:SCOPE_SE
	s_wait_dscnt 0x0
	s_barrier_signal -1
	s_barrier_wait -1
	global_inv scope:SCOPE_SE
	global_wb scope:SCOPE_SE
	s_barrier_signal -1
	s_barrier_wait -1
	global_inv scope:SCOPE_SE
	ds_load_2addr_b64 v[8:11], v46 offset1:96
	ds_load_b64 v[40:41], v46 offset:12288
	ds_load_2addr_b64 v[28:31], v35 offset0:64 offset1:160
	ds_load_2addr_b64 v[0:3], v47 offset0:64 offset1:160
	;; [unrolled: 1-line block ×5, first 2 shown]
	ds_load_2addr_b64 v[16:19], v48 offset1:96
	ds_load_2addr_b64 v[12:15], v52 offset0:64 offset1:160
	global_wb scope:SCOPE_SE
	s_wait_dscnt 0x0
	s_barrier_signal -1
	s_barrier_wait -1
	global_inv scope:SCOPE_SE
	v_add_f32_e32 v71, v41, v11
	v_sub_f32_e32 v69, v11, v41
	v_sub_f32_e32 v72, v31, v1
	v_add_f32_e32 v56, v0, v30
	v_dual_add_f32 v64, v12, v22 :: v_dual_add_f32 v77, v7, v25
	v_dual_add_f32 v53, v40, v10 :: v_dual_sub_f32 v78, v21, v15
	s_delay_alu instid0(VALU_DEP_4)
	v_mul_f32_e32 v94, 0xbf65296c, v72
	v_sub_f32_e32 v70, v29, v3
	v_add_f32_e32 v54, v2, v28
	v_sub_f32_e32 v74, v25, v7
	v_add_f32_e32 v58, v6, v24
	v_fma_f32 v44, 0x3ee437d1, v56, -v94
	v_mul_f32_e32 v97, 0xbeb8f4ab, v69
	v_mul_f32_e32 v95, 0xbf2c7751, v70
	v_dual_add_f32 v79, v5, v27 :: v_dual_mul_f32 v90, 0xbf7ee86f, v74
	v_dual_add_f32 v73, v3, v29 :: v_dual_sub_f32 v66, v22, v12
	s_delay_alu instid0(VALU_DEP_4)
	v_fma_f32 v38, 0x3f6eb680, v53, -v97
	v_sub_f32_e32 v83, v17, v19
	v_fma_f32 v42, 0x3f3d2fb0, v54, -v95
	v_dual_sub_f32 v76, v27, v5 :: v_dual_sub_f32 v65, v10, v40
	v_add_f32_e32 v60, v4, v26
	v_dual_add_f32 v38, v8, v38 :: v_dual_add_f32 v89, v19, v17
	v_dual_sub_f32 v55, v28, v2 :: v_dual_sub_f32 v80, v23, v13
	v_add_f32_e32 v62, v14, v20
	s_delay_alu instid0(VALU_DEP_3) | instskip(SKIP_3) | instid1(VALU_DEP_4)
	v_add_f32_e32 v38, v42, v38
	v_fma_f32 v42, 0x3dbcf732, v58, -v90
	v_dual_add_f32 v81, v13, v23 :: v_dual_mul_f32 v84, 0xbf4c4adb, v78
	v_dual_sub_f32 v57, v30, v0 :: v_dual_mul_f32 v100, 0x3f6eb680, v71
	v_dual_add_f32 v38, v44, v38 :: v_dual_mul_f32 v99, 0x3f3d2fb0, v73
	v_dual_sub_f32 v63, v20, v14 :: v_dual_mul_f32 v86, 0xbf06c442, v80
	v_dual_add_f32 v75, v1, v31 :: v_dual_sub_f32 v68, v16, v18
	s_delay_alu instid0(VALU_DEP_3) | instskip(SKIP_3) | instid1(VALU_DEP_4)
	v_dual_add_f32 v38, v42, v38 :: v_dual_mul_f32 v85, 0xbf763a35, v76
	v_fma_f32 v42, 0xbf1a4643, v62, -v84
	v_dual_add_f32 v82, v15, v21 :: v_dual_add_f32 v67, v18, v16
	v_mul_f32_e32 v87, 0xbe3c28d5, v83
	v_fma_f32 v44, 0xbe8c1d8e, v60, -v85
	v_dual_sub_f32 v59, v24, v6 :: v_dual_mul_f32 v98, 0x3ee437d1, v75
	s_delay_alu instid0(VALU_DEP_4) | instskip(SKIP_1) | instid1(VALU_DEP_4)
	v_dual_mul_f32 v88, 0xbf1a4643, v82 :: v_dual_sub_f32 v61, v26, v4
	v_mul_f32_e32 v96, 0x3dbcf732, v77
	v_dual_add_f32 v38, v44, v38 :: v_dual_mul_f32 v93, 0xbe8c1d8e, v79
	v_fma_f32 v44, 0xbf59a7d5, v64, -v86
	v_fmamk_f32 v45, v57, 0xbf65296c, v98
	v_mul_f32_e32 v92, 0xbf7ba420, v89
	s_delay_alu instid0(VALU_DEP_4) | instskip(SKIP_1) | instid1(VALU_DEP_2)
	v_dual_add_f32 v38, v42, v38 :: v_dual_fmamk_f32 v39, v65, 0xbeb8f4ab, v100
	v_fma_f32 v42, 0xbf7ba420, v67, -v87
	v_dual_mul_f32 v91, 0xbf59a7d5, v81 :: v_dual_add_f32 v38, v44, v38
	v_fmamk_f32 v43, v55, 0xbf2c7751, v99
	s_delay_alu instid0(VALU_DEP_2) | instskip(NEXT) | instid1(VALU_DEP_1)
	v_dual_add_f32 v39, v9, v39 :: v_dual_add_f32 v38, v42, v38
	v_add_f32_e32 v39, v43, v39
	v_fmamk_f32 v43, v59, 0xbf7ee86f, v96
	s_delay_alu instid0(VALU_DEP_2) | instskip(SKIP_1) | instid1(VALU_DEP_2)
	v_add_f32_e32 v39, v45, v39
	v_fmamk_f32 v45, v61, 0xbf763a35, v93
	v_add_f32_e32 v39, v43, v39
	v_fmamk_f32 v43, v63, 0xbf4c4adb, v88
	s_delay_alu instid0(VALU_DEP_2) | instskip(SKIP_1) | instid1(VALU_DEP_2)
	v_add_f32_e32 v39, v45, v39
	v_fmamk_f32 v45, v66, 0xbf06c442, v91
	v_add_f32_e32 v39, v43, v39
	v_fmamk_f32 v43, v68, 0xbe3c28d5, v92
	s_delay_alu instid0(VALU_DEP_2) | instskip(NEXT) | instid1(VALU_DEP_1)
	v_add_f32_e32 v39, v45, v39
	v_add_f32_e32 v39, v43, v39
	v_cmpx_gt_u32_e32 0x60, v34
	s_cbranch_execz .LBB0_21
; %bb.20:
	v_mul_f32_e32 v113, 0xbf65296c, v65
	v_dual_mul_f32 v111, 0xbf4c4adb, v55 :: v_dual_mul_f32 v112, 0xbf4c4adb, v70
	v_dual_mul_f32 v104, 0x3f2c7751, v61 :: v_dual_mul_f32 v107, 0x3f2c7751, v76
	s_delay_alu instid0(VALU_DEP_3) | instskip(SKIP_2) | instid1(VALU_DEP_4)
	v_fmamk_f32 v42, v71, 0x3ee437d1, v113
	v_mul_f32_e32 v114, 0xbf65296c, v69
	v_mul_f32_e32 v109, 0x3f763a35, v74
	v_fmamk_f32 v115, v79, 0x3f3d2fb0, v104
	v_fmamk_f32 v43, v73, 0xbf1a4643, v111
	v_dual_add_f32 v42, v9, v42 :: v_dual_mul_f32 v105, 0x3f763a35, v59
	v_dual_mul_f32 v128, 0x3eb8f4ab, v74 :: v_dual_add_f32 v11, v9, v11
	v_fma_f32 v116, 0xbe8c1d8e, v58, -v109
	s_delay_alu instid0(VALU_DEP_3) | instskip(SKIP_4) | instid1(VALU_DEP_3)
	v_add_f32_e32 v42, v43, v42
	v_fma_f32 v43, 0x3ee437d1, v53, -v114
	v_mul_f32_e32 v106, 0x3e3c28d5, v57
	v_mul_f32_e32 v110, 0x3e3c28d5, v72
	v_dual_mul_f32 v126, 0xbf06c442, v78 :: v_dual_add_f32 v11, v11, v29
	v_dual_add_f32 v43, v8, v43 :: v_dual_fmamk_f32 v44, v75, 0xbf7ba420, v106
	v_mul_f32_e32 v103, 0xbeb8f4ab, v63
	v_dual_mul_f32 v131, 0xbf7ee86f, v69 :: v_dual_mul_f32 v102, 0xbf7ee86f, v66
	s_delay_alu instid0(VALU_DEP_3) | instskip(SKIP_2) | instid1(VALU_DEP_4)
	v_dual_mul_f32 v117, 0xbf7ee86f, v65 :: v_dual_add_f32 v42, v44, v42
	v_fma_f32 v44, 0xbf1a4643, v54, -v112
	v_mul_f32_e32 v119, 0x3f763a35, v57
	v_fma_f32 v123, 0x3dbcf732, v53, -v131
	v_mul_f32_e32 v134, 0xbf65296c, v61
	v_fma_f32 v29, 0xbf59a7d5, v62, -v126
	v_dual_add_f32 v43, v44, v43 :: v_dual_fmamk_f32 v44, v82, 0x3f6eb680, v103
	v_fmamk_f32 v45, v77, 0xbe8c1d8e, v105
	v_mul_f32_e32 v101, 0xbf06c442, v68
	v_fmamk_f32 v125, v79, 0x3ee437d1, v134
	v_fmamk_f32 v121, v75, 0xbe8c1d8e, v119
	v_mul_f32_e32 v118, 0xbe3c28d5, v55
	v_add_f32_e32 v42, v45, v42
	v_fma_f32 v45, 0xbf7ba420, v56, -v110
	v_add_f32_e32 v10, v8, v10
	v_mul_f32_e32 v133, 0xbe3c28d5, v70
	s_delay_alu instid0(VALU_DEP_4)
	v_dual_mul_f32 v129, 0x3f763a35, v72 :: v_dual_add_f32 v42, v115, v42
	v_fmamk_f32 v115, v81, 0x3dbcf732, v102
	v_add_f32_e32 v43, v45, v43
	v_dual_fmamk_f32 v45, v71, 0x3dbcf732, v117 :: v_dual_add_f32 v10, v10, v28
	v_mul_f32_e32 v142, 0xbf763a35, v69
	v_dual_mul_f32 v143, 0x3f06c442, v55 :: v_dual_mul_f32 v144, 0x3f06c442, v70
	s_delay_alu instid0(VALU_DEP_4) | instskip(NEXT) | instid1(VALU_DEP_4)
	v_add_f32_e32 v43, v116, v43
	v_add_f32_e32 v45, v9, v45
	v_fmamk_f32 v116, v73, 0xbf7ba420, v118
	v_dual_mul_f32 v147, 0xbf65296c, v59 :: v_dual_mul_f32 v148, 0xbf65296c, v74
	v_mul_f32_e32 v145, 0x3f2c7751, v57
	v_dual_mul_f32 v149, 0xbe3c28d5, v61 :: v_dual_mul_f32 v150, 0xbe3c28d5, v76
	s_delay_alu instid0(VALU_DEP_4)
	v_add_f32_e32 v45, v116, v45
	v_add_f32_e32 v42, v44, v42
	v_fma_f32 v44, 0x3f3d2fb0, v60, -v107
	v_mul_f32_e32 v108, 0xbeb8f4ab, v78
	v_dual_mul_f32 v151, 0x3f7ee86f, v63 :: v_dual_mul_f32 v152, 0x3f7ee86f, v78
	v_dual_add_f32 v45, v121, v45 :: v_dual_mul_f32 v120, 0x3eb8f4ab, v59
	v_dual_add_f32 v42, v115, v42 :: v_dual_mul_f32 v115, 0xbf7ee86f, v80
	v_add_f32_e32 v43, v44, v43
	v_fma_f32 v44, 0x3f6eb680, v62, -v108
	s_delay_alu instid0(VALU_DEP_4) | instskip(SKIP_1) | instid1(VALU_DEP_3)
	v_fmamk_f32 v121, v77, 0x3f6eb680, v120
	v_dual_mul_f32 v153, 0xbeb8f4ab, v66 :: v_dual_mul_f32 v154, 0xbeb8f4ab, v80
	v_dual_mul_f32 v140, 0xbf4c4adb, v69 :: v_dual_add_f32 v43, v44, v43
	s_delay_alu instid0(VALU_DEP_3)
	v_add_f32_e32 v45, v121, v45
	v_add_f32_e32 v121, v8, v123
	v_fma_f32 v123, 0xbf7ba420, v54, -v133
	v_fma_f32 v44, 0x3dbcf732, v64, -v115
	v_fmamk_f32 v122, v89, 0xbf59a7d5, v101
	v_dual_mul_f32 v157, 0x3f763a35, v55 :: v_dual_mul_f32 v158, 0x3f763a35, v70
	s_delay_alu instid0(VALU_DEP_4) | instskip(NEXT) | instid1(VALU_DEP_3)
	v_dual_add_f32 v121, v123, v121 :: v_dual_mul_f32 v116, 0xbf06c442, v83
	v_dual_add_f32 v44, v44, v43 :: v_dual_add_f32 v43, v122, v42
	v_fma_f32 v122, 0xbe8c1d8e, v56, -v129
	v_mul_f32_e32 v130, 0xbf06c442, v63
	s_delay_alu instid0(VALU_DEP_4)
	v_fma_f32 v124, 0xbf59a7d5, v67, -v116
	v_mul_f32_e32 v132, 0x3f4c4adb, v66
	v_add_f32_e32 v123, v10, v30
	v_add_f32_e32 v121, v122, v121
	v_fma_f32 v122, 0x3f6eb680, v58, -v128
	v_add_f32_e32 v42, v124, v44
	v_dual_add_f32 v44, v125, v45 :: v_dual_fmamk_f32 v45, v82, 0xbf59a7d5, v130
	v_mul_f32_e32 v124, 0x3f2c7751, v68
	v_fma_f32 v30, 0xbe8c1d8e, v53, -v142
	v_mul_f32_e32 v127, 0xbf65296c, v76
	v_mul_f32_e32 v146, 0x3f2c7751, v72
	v_dual_add_f32 v44, v45, v44 :: v_dual_add_f32 v45, v122, v121
	v_add_f32_e32 v122, v11, v31
	v_add_f32_e32 v30, v8, v30
	v_fma_f32 v121, 0x3ee437d1, v60, -v127
	v_fmamk_f32 v11, v81, 0xbf1a4643, v132
	v_dual_mul_f32 v159, 0xbeb8f4ab, v57 :: v_dual_mul_f32 v160, 0xbeb8f4ab, v72
	v_fma_f32 v135, 0xbe8c1d8e, v54, -v158
	s_delay_alu instid0(VALU_DEP_4) | instskip(NEXT) | instid1(VALU_DEP_4)
	v_add_f32_e32 v28, v121, v45
	v_dual_add_f32 v10, v11, v44 :: v_dual_mul_f32 v121, 0x3f2c7751, v83
	v_fma_f32 v44, 0xbf59a7d5, v54, -v144
	v_fmamk_f32 v11, v89, 0x3f3d2fb0, v124
	s_delay_alu instid0(VALU_DEP_4) | instskip(SKIP_1) | instid1(VALU_DEP_4)
	v_dual_add_f32 v28, v29, v28 :: v_dual_mul_f32 v161, 0xbf06c442, v59
	v_mul_f32_e32 v162, 0xbf06c442, v74
	v_add_f32_e32 v30, v44, v30
	v_fma_f32 v44, 0x3f3d2fb0, v56, -v146
	v_mul_f32_e32 v141, 0xbf763a35, v65
	v_dual_add_f32 v11, v11, v10 :: v_dual_mul_f32 v164, 0x3f7ee86f, v76
	v_mul_f32_e32 v172, 0x3f65296c, v70
	s_delay_alu instid0(VALU_DEP_4) | instskip(NEXT) | instid1(VALU_DEP_4)
	v_add_f32_e32 v30, v44, v30
	v_fmamk_f32 v10, v71, 0xbe8c1d8e, v141
	v_fma_f32 v44, 0x3ee437d1, v58, -v148
	v_fmamk_f32 v31, v73, 0xbf59a7d5, v143
	v_fma_f32 v174, 0x3ee437d1, v54, -v172
	v_mul_f32_e32 v166, 0xbf2c7751, v78
	v_add_f32_e32 v10, v9, v10
	v_dual_add_f32 v30, v44, v30 :: v_dual_mul_f32 v125, 0x3f4c4adb, v80
	v_fma_f32 v44, 0xbf7ba420, v60, -v150
	v_mul_f32_e32 v156, 0xbf4c4adb, v83
	s_delay_alu instid0(VALU_DEP_4)
	v_add_f32_e32 v10, v31, v10
	v_fmamk_f32 v31, v75, 0x3f3d2fb0, v145
	v_fma_f32 v29, 0xbf1a4643, v64, -v125
	v_add_f32_e32 v30, v44, v30
	v_fma_f32 v44, 0x3dbcf732, v62, -v152
	v_mul_f32_e32 v168, 0xbe3c28d5, v80
	v_dual_add_f32 v10, v31, v10 :: v_dual_fmamk_f32 v31, v77, 0x3ee437d1, v147
	v_add_f32_e32 v28, v29, v28
	s_delay_alu instid0(VALU_DEP_4)
	v_add_f32_e32 v30, v44, v30
	v_fma_f32 v29, 0x3f3d2fb0, v67, -v121
	v_fma_f32 v44, 0x3f6eb680, v64, -v154
	v_add_f32_e32 v10, v31, v10
	v_fmamk_f32 v31, v79, 0xbf7ba420, v149
	v_fmamk_f32 v45, v81, 0x3f6eb680, v153
	s_delay_alu instid0(VALU_DEP_4) | instskip(SKIP_1) | instid1(VALU_DEP_4)
	v_dual_mul_f32 v165, 0xbf2c7751, v63 :: v_dual_add_f32 v30, v44, v30
	v_fma_f32 v44, 0xbf1a4643, v53, -v140
	v_dual_add_f32 v10, v31, v10 :: v_dual_fmamk_f32 v31, v82, 0x3dbcf732, v151
	v_mul_f32_e32 v169, 0x3f65296c, v68
	s_delay_alu instid0(VALU_DEP_3) | instskip(NEXT) | instid1(VALU_DEP_3)
	v_dual_mul_f32 v139, 0xbf4c4adb, v65 :: v_dual_add_f32 v44, v8, v44
	v_dual_mul_f32 v138, 0xbf06c442, v69 :: v_dual_add_f32 v31, v31, v10
	v_mul_f32_e32 v155, 0xbf4c4adb, v68
	v_add_f32_e32 v10, v29, v28
	s_delay_alu instid0(VALU_DEP_4) | instskip(SKIP_4) | instid1(VALU_DEP_4)
	v_add_f32_e32 v44, v135, v44
	v_fma_f32 v135, 0x3f6eb680, v56, -v160
	v_add_f32_e32 v28, v45, v31
	v_fmamk_f32 v29, v89, 0xbf1a4643, v155
	v_fmamk_f32 v45, v73, 0xbe8c1d8e, v157
	v_dual_mul_f32 v137, 0xbf06c442, v65 :: v_dual_add_f32 v44, v135, v44
	v_fma_f32 v135, 0xbf59a7d5, v58, -v162
	s_delay_alu instid0(VALU_DEP_4)
	v_add_f32_e32 v29, v29, v28
	v_fma_f32 v31, 0xbf1a4643, v67, -v156
	v_mul_f32_e32 v175, 0xbf7ee86f, v72
	v_dual_mul_f32 v176, 0x3f4c4adb, v59 :: v_dual_mul_f32 v177, 0x3f4c4adb, v74
	v_add_f32_e32 v44, v135, v44
	v_fma_f32 v135, 0x3dbcf732, v60, -v164
	v_dual_mul_f32 v178, 0xbeb8f4ab, v61 :: v_dual_mul_f32 v179, 0xbeb8f4ab, v76
	v_dual_mul_f32 v180, 0xbe3c28d5, v63 :: v_dual_mul_f32 v181, 0xbe3c28d5, v78
	s_delay_alu instid0(VALU_DEP_3)
	v_add_f32_e32 v44, v135, v44
	v_fma_f32 v135, 0x3f3d2fb0, v62, -v166
	v_mul_f32_e32 v163, 0x3f7ee86f, v61
	v_mul_f32_e32 v171, 0x3f65296c, v55
	;; [unrolled: 1-line block ×3, first 2 shown]
	v_dual_mul_f32 v183, 0x3f2c7751, v66 :: v_dual_mul_f32 v184, 0x3f2c7751, v80
	v_add_f32_e32 v44, v135, v44
	v_fma_f32 v135, 0xbf7ba420, v64, -v168
	v_fmamk_f32 v182, v82, 0xbf7ba420, v180
	v_mul_f32_e32 v194, 0xbf06c442, v72
	v_mul_f32_e32 v188, 0xbf06c442, v57
	s_delay_alu instid0(VALU_DEP_4) | instskip(SKIP_4) | instid1(VALU_DEP_4)
	v_dual_mul_f32 v167, 0xbe3c28d5, v66 :: v_dual_add_f32 v44, v135, v44
	v_fma_f32 v135, 0xbf59a7d5, v53, -v138
	v_fmamk_f32 v28, v71, 0xbf1a4643, v139
	v_mul_f32_e32 v196, 0x3f2c7751, v74
	v_fma_f32 v105, 0xbe8c1d8e, v77, -v105
	v_dual_fmac_f32 v142, 0xbe8c1d8e, v53 :: v_dual_add_f32 v135, v8, v135
	s_delay_alu instid0(VALU_DEP_4) | instskip(SKIP_2) | instid1(VALU_DEP_4)
	v_add_f32_e32 v28, v9, v28
	v_fma_f32 v103, 0x3f6eb680, v82, -v103
	v_fmac_f32_e32 v144, 0xbf59a7d5, v54
	v_dual_add_f32 v142, v8, v142 :: v_dual_fmac_f32 v127, 0x3ee437d1, v60
	s_delay_alu instid0(VALU_DEP_4) | instskip(SKIP_2) | instid1(VALU_DEP_4)
	v_dual_add_f32 v28, v45, v28 :: v_dual_fmamk_f32 v45, v75, 0x3f6eb680, v159
	v_add_f32_e32 v135, v174, v135
	v_fma_f32 v174, 0x3dbcf732, v56, -v175
	v_dual_add_f32 v144, v144, v142 :: v_dual_fmac_f32 v107, 0x3f3d2fb0, v60
	s_delay_alu instid0(VALU_DEP_4) | instskip(SKIP_1) | instid1(VALU_DEP_4)
	v_add_f32_e32 v28, v45, v28
	v_fmamk_f32 v45, v77, 0xbf59a7d5, v161
	v_add_f32_e32 v135, v174, v135
	v_fma_f32 v174, 0xbf1a4643, v58, -v177
	v_fmamk_f32 v136, v81, 0xbf7ba420, v167
	s_delay_alu instid0(VALU_DEP_4) | instskip(SKIP_1) | instid1(VALU_DEP_4)
	v_dual_mul_f32 v173, 0xbf7ee86f, v57 :: v_dual_add_f32 v28, v45, v28
	v_fmamk_f32 v45, v79, 0x3dbcf732, v163
	v_add_f32_e32 v135, v174, v135
	v_fma_f32 v174, 0x3f6eb680, v60, -v179
	v_dual_fmac_f32 v156, 0xbf1a4643, v67 :: v_dual_fmac_f32 v125, 0xbf1a4643, v64
	s_delay_alu instid0(VALU_DEP_4) | instskip(NEXT) | instid1(VALU_DEP_3)
	v_dual_add_f32 v28, v45, v28 :: v_dual_fmamk_f32 v45, v82, 0x3f3d2fb0, v165
	v_add_f32_e32 v135, v174, v135
	v_fma_f32 v174, 0xbf7ba420, v62, -v181
	v_mul_f32_e32 v185, 0xbf763a35, v83
	s_delay_alu instid0(VALU_DEP_4) | instskip(NEXT) | instid1(VALU_DEP_3)
	v_dual_fmac_f32 v126, 0xbf59a7d5, v62 :: v_dual_add_f32 v45, v45, v28
	v_dual_add_f32 v28, v31, v30 :: v_dual_add_f32 v135, v174, v135
	v_fma_f32 v174, 0x3f3d2fb0, v64, -v184
	s_delay_alu instid0(VALU_DEP_3)
	v_dual_mul_f32 v191, 0x3eb8f4ab, v70 :: v_dual_add_f32 v30, v136, v45
	v_fmamk_f32 v31, v89, 0x3ee437d1, v169
	v_fmamk_f32 v136, v73, 0x3ee437d1, v171
	v_fma_f32 v45, 0x3ee437d1, v67, -v170
	v_add_f32_e32 v135, v174, v135
	v_fma_f32 v193, 0x3f6eb680, v54, -v191
	v_add_f32_e32 v31, v31, v30
	v_fmamk_f32 v30, v71, 0xbf59a7d5, v137
	v_fmac_f32_e32 v191, 0x3f6eb680, v54
	v_mul_f32_e32 v174, 0xbe3c28d5, v69
	v_mul_f32_e32 v187, 0x3eb8f4ab, v55
	v_fma_f32 v137, 0xbf59a7d5, v71, -v137
	v_dual_add_f32 v30, v9, v30 :: v_dual_mul_f32 v197, 0x3f65296c, v63
	s_delay_alu instid0(VALU_DEP_4) | instskip(SKIP_1) | instid1(VALU_DEP_3)
	v_fma_f32 v190, 0xbf7ba420, v53, -v174
	v_dual_fmac_f32 v174, 0xbf7ba420, v53 :: v_dual_fmac_f32 v181, 0xbf7ba420, v62
	v_add_f32_e32 v30, v136, v30
	v_fmamk_f32 v136, v75, 0x3dbcf732, v173
	s_delay_alu instid0(VALU_DEP_4)
	v_add_f32_e32 v190, v8, v190
	v_fma_f32 v171, 0x3ee437d1, v73, -v171
	v_mul_f32_e32 v195, 0xbf4c4adb, v61
	v_fmac_f32_e32 v146, 0x3f3d2fb0, v56
	v_add_f32_e32 v30, v136, v30
	v_fmamk_f32 v136, v77, 0xbf1a4643, v176
	v_add_f32_e32 v190, v193, v190
	v_fma_f32 v193, 0xbf59a7d5, v56, -v194
	v_dual_fmac_f32 v194, 0xbf59a7d5, v56 :: v_dual_add_f32 v137, v9, v137
	s_delay_alu instid0(VALU_DEP_4)
	v_add_f32_e32 v30, v136, v30
	v_fmamk_f32 v136, v79, 0x3f6eb680, v178
	v_mul_f32_e32 v192, 0x3f2c7751, v59
	v_fma_f32 v199, 0xbe8c1d8e, v67, -v185
	v_add_f32_e32 v137, v171, v137
	v_fma_f32 v171, 0x3dbcf732, v75, -v173
	v_add_f32_e32 v136, v136, v30
	v_add_f32_e32 v30, v45, v44
	v_fmamk_f32 v45, v81, 0x3f3d2fb0, v183
	v_mul_f32_e32 v201, 0x3f65296c, v78
	s_delay_alu instid0(VALU_DEP_4)
	v_dual_add_f32 v137, v171, v137 :: v_dual_add_f32 v44, v182, v136
	v_mul_f32_e32 v136, 0xbe3c28d5, v65
	v_mul_f32_e32 v182, 0xbf763a35, v68
	v_fma_f32 v171, 0xbf1a4643, v77, -v176
	v_add_f32_e32 v190, v193, v190
	v_fma_f32 v193, 0x3f3d2fb0, v58, -v196
	v_fmamk_f32 v186, v71, 0xbf7ba420, v136
	v_fmamk_f32 v189, v89, 0xbe8c1d8e, v182
	v_dual_add_f32 v44, v45, v44 :: v_dual_add_f32 v137, v171, v137
	v_fma_f32 v171, 0x3f6eb680, v79, -v178
	s_delay_alu instid0(VALU_DEP_4) | instskip(SKIP_4) | instid1(VALU_DEP_4)
	v_add_f32_e32 v45, v9, v186
	v_fmamk_f32 v186, v73, 0x3f6eb680, v187
	v_mul_f32_e32 v198, 0xbf4c4adb, v76
	v_dual_add_f32 v190, v193, v190 :: v_dual_fmac_f32 v175, 0x3dbcf732, v56
	v_add_f32_e32 v171, v171, v137
	v_dual_add_f32 v45, v186, v45 :: v_dual_fmamk_f32 v186, v75, 0xbf59a7d5, v188
	s_delay_alu instid0(VALU_DEP_4)
	v_fma_f32 v193, 0xbf1a4643, v60, -v198
	v_fma_f32 v139, 0xbf1a4643, v71, -v139
	v_fmamk_f32 v200, v82, 0x3ee437d1, v197
	v_dual_add_f32 v144, v146, v144 :: v_dual_fmac_f32 v109, 0xbe8c1d8e, v58
	v_dual_add_f32 v45, v186, v45 :: v_dual_fmamk_f32 v186, v77, 0x3f3d2fb0, v192
	v_add_f32_e32 v190, v193, v190
	v_fma_f32 v193, 0x3ee437d1, v62, -v201
	v_dual_fmac_f32 v148, 0x3ee437d1, v58 :: v_dual_add_f32 v139, v9, v139
	s_delay_alu instid0(VALU_DEP_4) | instskip(SKIP_1) | instid1(VALU_DEP_3)
	v_dual_add_f32 v45, v186, v45 :: v_dual_fmamk_f32 v186, v79, 0xbf1a4643, v195
	v_fmac_f32_e32 v150, 0xbf7ba420, v60
	v_add_f32_e32 v144, v148, v144
	v_fma_f32 v187, 0x3f6eb680, v73, -v187
	v_fma_f32 v157, 0xbe8c1d8e, v73, -v157
	v_dual_add_f32 v186, v186, v45 :: v_dual_add_f32 v45, v189, v44
	v_dual_mul_f32 v189, 0xbf763a35, v66 :: v_dual_add_f32 v44, v199, v135
	v_fmac_f32_e32 v201, 0x3ee437d1, v62
	v_fma_f32 v135, 0xbf7ba420, v71, -v136
	v_dual_add_f32 v136, v193, v190 :: v_dual_fmac_f32 v179, 0x3f6eb680, v60
	v_dual_mul_f32 v193, 0x3f7ee86f, v68 :: v_dual_add_f32 v186, v200, v186
	v_mul_f32_e32 v200, 0xbf763a35, v80
	v_fmamk_f32 v202, v81, 0xbe8c1d8e, v189
	v_add_f32_e32 v135, v9, v135
	v_fma_f32 v143, 0xbf59a7d5, v73, -v143
	v_fma_f32 v118, 0xbf7ba420, v73, -v118
	;; [unrolled: 1-line block ×3, first 2 shown]
	v_add_f32_e32 v144, v150, v144
	v_fmac_f32_e32 v152, 0x3dbcf732, v62
	v_fma_f32 v111, 0xbf1a4643, v73, -v111
	v_mul_f32_e32 v73, 0x3dbcf732, v73
	v_fmac_f32_e32 v140, 0xbf1a4643, v53
	v_dual_add_f32 v190, v190, v136 :: v_dual_fmac_f32 v177, 0xbf1a4643, v58
	v_add_f32_e32 v135, v187, v135
	v_dual_fmamk_f32 v187, v89, 0x3dbcf732, v193 :: v_dual_add_f32 v186, v202, v186
	v_add_f32_e32 v139, v157, v139
	v_fma_f32 v157, 0x3f6eb680, v75, -v159
	v_add_f32_e32 v136, v8, v174
	v_fma_f32 v174, 0xbf59a7d5, v75, -v188
	v_add_f32_e32 v140, v8, v140
	v_fmac_f32_e32 v116, 0xbf59a7d5, v67
	v_fmac_f32_e32 v154, 0x3f6eb680, v64
	s_delay_alu instid0(VALU_DEP_4) | instskip(SKIP_3) | instid1(VALU_DEP_4)
	v_dual_fmac_f32 v158, 0xbe8c1d8e, v54 :: v_dual_add_f32 v135, v174, v135
	v_fma_f32 v174, 0x3f3d2fb0, v77, -v192
	v_fmac_f32_e32 v160, 0x3f6eb680, v56
	v_fma_f32 v113, 0x3ee437d1, v71, -v113
	v_dual_add_f32 v140, v158, v140 :: v_dual_fmac_f32 v131, 0x3dbcf732, v53
	s_delay_alu instid0(VALU_DEP_4)
	v_add_f32_e32 v174, v174, v135
	v_add_f32_e32 v139, v157, v139
	;; [unrolled: 1-line block ×3, first 2 shown]
	v_fma_f32 v157, 0xbf59a7d5, v77, -v161
	v_dual_add_f32 v160, v160, v140 :: v_dual_add_f32 v113, v9, v113
	v_fma_f32 v134, 0x3ee437d1, v79, -v134
	v_fmac_f32_e32 v162, 0xbf59a7d5, v58
	v_mul_f32_e32 v188, 0x3f7ee86f, v83
	v_dual_add_f32 v136, v187, v186 :: v_dual_add_f32 v139, v157, v139
	v_add_f32_e32 v187, v194, v191
	v_fma_f32 v191, 0xbf1a4643, v79, -v195
	s_delay_alu instid0(VALU_DEP_4) | instskip(SKIP_2) | instid1(VALU_DEP_4)
	v_fma_f32 v186, 0x3dbcf732, v67, -v188
	v_fma_f32 v157, 0x3dbcf732, v79, -v163
	v_fmac_f32_e32 v196, 0x3f3d2fb0, v58
	v_dual_fmac_f32 v185, 0xbe8c1d8e, v67 :: v_dual_add_f32 v174, v191, v174
	s_delay_alu instid0(VALU_DEP_4) | instskip(NEXT) | instid1(VALU_DEP_4)
	v_add_f32_e32 v135, v186, v190
	v_add_f32_e32 v139, v157, v139
	s_delay_alu instid0(VALU_DEP_4)
	v_add_f32_e32 v186, v196, v187
	v_fma_f32 v187, 0x3ee437d1, v82, -v197
	v_fma_f32 v141, 0xbe8c1d8e, v71, -v141
	v_fmac_f32_e32 v114, 0x3ee437d1, v53
	v_fma_f32 v157, 0x3f3d2fb0, v82, -v165
	v_fmac_f32_e32 v198, 0xbf1a4643, v60
	s_delay_alu instid0(VALU_DEP_4)
	v_dual_add_f32 v174, v187, v174 :: v_dual_add_f32 v141, v9, v141
	v_dual_fmac_f32 v164, 0x3dbcf732, v60 :: v_dual_add_f32 v111, v111, v113
	v_fma_f32 v106, 0xbf7ba420, v75, -v106
	v_add_f32_e32 v114, v8, v114
	v_fmac_f32_e32 v112, 0xbf1a4643, v54
	v_dual_fmac_f32 v200, 0xbe8c1d8e, v64 :: v_dual_add_f32 v141, v143, v141
	v_dual_add_f32 v157, v157, v139 :: v_dual_add_f32 v186, v198, v186
	v_fmac_f32_e32 v168, 0xbf7ba420, v64
	v_fmac_f32_e32 v138, 0xbf59a7d5, v53
	v_fma_f32 v143, 0x3f3d2fb0, v75, -v145
	v_add_f32_e32 v106, v106, v111
	v_add_f32_e32 v112, v112, v114
	v_dual_fmac_f32 v110, 0xbf7ba420, v56 :: v_dual_add_f32 v173, v201, v186
	s_delay_alu instid0(VALU_DEP_4)
	v_dual_add_f32 v186, v8, v138 :: v_dual_add_f32 v141, v143, v141
	v_fma_f32 v143, 0x3ee437d1, v77, -v147
	v_fma_f32 v120, 0x3f6eb680, v77, -v120
	v_add_f32_e32 v105, v105, v106
	v_fma_f32 v104, 0x3f3d2fb0, v79, -v104
	v_dual_mul_f32 v77, 0xbf7ba420, v77 :: v_dual_add_f32 v106, v110, v112
	v_fma_f32 v187, 0xbe8c1d8e, v81, -v189
	v_fma_f32 v146, 0xbf7ba420, v79, -v149
	s_delay_alu instid0(VALU_DEP_4) | instskip(NEXT) | instid1(VALU_DEP_4)
	v_dual_add_f32 v104, v104, v105 :: v_dual_mul_f32 v79, 0xbf59a7d5, v79
	v_add_f32_e32 v106, v109, v106
	v_fma_f32 v102, 0x3dbcf732, v81, -v102
	s_delay_alu instid0(VALU_DEP_3) | instskip(SKIP_1) | instid1(VALU_DEP_4)
	v_dual_fmac_f32 v108, 0x3f6eb680, v62 :: v_dual_add_f32 v103, v103, v104
	v_fma_f32 v176, 0x3dbcf732, v89, -v193
	v_add_f32_e32 v106, v107, v106
	v_dual_fmac_f32 v172, 0x3ee437d1, v54 :: v_dual_add_f32 v143, v143, v141
	v_fmac_f32_e32 v170, 0x3ee437d1, v67
	v_fma_f32 v117, 0x3dbcf732, v71, -v117
	v_add_f32_e32 v102, v102, v103
	v_mul_f32_e32 v103, 0x3f3d2fb0, v71
	v_add_f32_e32 v71, v108, v106
	v_dual_add_f32 v174, v187, v174 :: v_dual_add_f32 v143, v146, v143
	v_add_f32_e32 v172, v172, v186
	v_dual_fmac_f32 v188, 0x3dbcf732, v67 :: v_dual_add_f32 v117, v9, v117
	s_delay_alu instid0(VALU_DEP_3) | instskip(NEXT) | instid1(VALU_DEP_3)
	v_add_f32_e32 v138, v176, v174
	v_dual_add_f32 v173, v200, v173 :: v_dual_add_f32 v172, v175, v172
	v_fma_f32 v174, 0xbf7ba420, v82, -v180
	s_delay_alu instid0(VALU_DEP_4) | instskip(SKIP_4) | instid1(VALU_DEP_4)
	v_add_f32_e32 v117, v118, v117
	v_fma_f32 v118, 0xbe8c1d8e, v75, -v119
	v_fma_f32 v101, 0xbf59a7d5, v89, -v101
	v_dual_add_f32 v172, v177, v172 :: v_dual_add_f32 v137, v188, v173
	v_add_f32_e32 v171, v174, v171
	v_add_f32_e32 v117, v118, v117
	v_fma_f32 v173, 0x3f3d2fb0, v81, -v183
	s_delay_alu instid0(VALU_DEP_4) | instskip(SKIP_2) | instid1(VALU_DEP_3)
	v_add_f32_e32 v159, v179, v172
	v_dual_fmac_f32 v184, 0x3f3d2fb0, v64 :: v_dual_add_f32 v131, v8, v131
	v_dual_add_f32 v102, v101, v102 :: v_dual_mul_f32 v109, 0xbeb8f4ab, v65
	v_add_f32_e32 v159, v181, v159
	v_fmamk_f32 v101, v65, 0x3f2c7751, v103
	v_add_f32_e32 v119, v152, v144
	v_dual_add_f32 v171, v173, v171 :: v_dual_add_f32 v120, v120, v117
	v_mul_f32_e32 v75, 0xbf1a4643, v75
	v_dual_add_f32 v158, v184, v159 :: v_dual_fmac_f32 v133, 0xbf7ba420, v54
	v_fma_f32 v159, 0xbe8c1d8e, v89, -v182
	v_add_f32_e32 v119, v154, v119
	v_fmac_f32_e32 v129, 0xbe8c1d8e, v56
	v_mul_f32_e32 v106, 0xbf2c7751, v69
	s_delay_alu instid0(VALU_DEP_4) | instskip(NEXT) | instid1(VALU_DEP_4)
	v_dual_add_f32 v69, v9, v101 :: v_dual_add_f32 v140, v159, v171
	v_add_f32_e32 v117, v156, v119
	v_add_f32_e32 v119, v134, v120
	v_dual_add_f32 v159, v162, v160 :: v_dual_add_f32 v120, v133, v131
	v_mul_f32_e32 v70, 0xbf7ee86f, v70
	v_add_f32_e32 v139, v185, v158
	v_fma_f32 v130, 0xbf59a7d5, v82, -v130
	s_delay_alu instid0(VALU_DEP_4) | instskip(SKIP_2) | instid1(VALU_DEP_4)
	v_dual_add_f32 v158, v164, v159 :: v_dual_add_f32 v113, v129, v120
	v_fmac_f32_e32 v166, 0x3f3d2fb0, v62
	v_fmamk_f32 v108, v54, 0x3dbcf732, v70
	v_dual_fmac_f32 v128, 0x3f6eb680, v58 :: v_dual_add_f32 v111, v130, v119
	v_fma_f32 v144, 0xbf1a4643, v89, -v155
	s_delay_alu instid0(VALU_DEP_4) | instskip(NEXT) | instid1(VALU_DEP_3)
	v_dual_add_f32 v158, v166, v158 :: v_dual_fmamk_f32 v107, v55, 0x3f7ee86f, v73
	v_add_f32_e32 v113, v128, v113
	v_fma_f32 v160, 0xbf7ba420, v81, -v167
	v_fma_f32 v110, 0xbf1a4643, v81, -v132
	v_fmac_f32_e32 v115, 0x3dbcf732, v64
	v_add_f32_e32 v69, v107, v69
	v_add_f32_e32 v105, v127, v113
	v_add_f32_e32 v145, v168, v158
	v_fmamk_f32 v107, v57, 0x3f4c4adb, v75
	v_add_f32_e32 v157, v160, v157
	v_fma_f32 v158, 0x3ee437d1, v89, -v169
	v_add_f32_e32 v104, v110, v111
	v_add_f32_e32 v141, v170, v145
	v_fma_f32 v145, 0x3dbcf732, v82, -v151
	v_add_f32_e32 v69, v107, v69
	v_dual_fmamk_f32 v107, v59, 0x3e3c28d5, v77 :: v_dual_add_f32 v142, v158, v157
	s_delay_alu instid0(VALU_DEP_3) | instskip(SKIP_1) | instid1(VALU_DEP_3)
	v_dual_mul_f32 v78, 0x3f763a35, v78 :: v_dual_add_f32 v143, v145, v143
	v_fma_f32 v145, 0x3f6eb680, v81, -v153
	v_add_f32_e32 v69, v107, v69
	v_fmamk_f32 v107, v61, 0xbf06c442, v79
	v_dual_mul_f32 v82, 0xbe8c1d8e, v82 :: v_dual_add_f32 v71, v115, v71
	s_delay_alu instid0(VALU_DEP_4) | instskip(NEXT) | instid1(VALU_DEP_3)
	v_dual_add_f32 v143, v145, v143 :: v_dual_sub_f32 v100, v100, v109
	v_add_f32_e32 v69, v107, v69
	s_delay_alu instid0(VALU_DEP_3) | instskip(NEXT) | instid1(VALU_DEP_3)
	v_fmamk_f32 v107, v63, 0xbf763a35, v82
	v_dual_mul_f32 v81, 0x3ee437d1, v81 :: v_dual_add_f32 v118, v144, v143
	v_mul_f32_e32 v72, 0xbf4c4adb, v72
	s_delay_alu instid0(VALU_DEP_3)
	v_dual_add_f32 v100, v9, v100 :: v_dual_add_f32 v69, v107, v69
	v_add_f32_e32 v101, v116, v71
	v_fmamk_f32 v71, v53, 0x3f3d2fb0, v106
	v_fmamk_f32 v109, v66, 0xbf65296c, v81
	v_mul_f32_e32 v74, 0xbe3c28d5, v74
	v_mul_f32_e32 v76, 0x3f06c442, v76
	v_fma_f32 v110, 0x3f3d2fb0, v89, -v124
	v_add_f32_e32 v71, v8, v71
	v_add_f32_e32 v109, v109, v69
	v_mul_f32_e32 v69, 0x3f3d2fb0, v54
	v_dual_mul_f32 v111, 0xbf06c442, v66 :: v_dual_add_f32 v24, v123, v24
	s_delay_alu instid0(VALU_DEP_4) | instskip(NEXT) | instid1(VALU_DEP_3)
	v_add_f32_e32 v71, v108, v71
	v_dual_fmamk_f32 v108, v56, 0xbf1a4643, v72 :: v_dual_add_f32 v69, v69, v95
	s_delay_alu instid0(VALU_DEP_3) | instskip(SKIP_1) | instid1(VALU_DEP_3)
	v_dual_add_f32 v25, v122, v25 :: v_dual_add_f32 v24, v24, v26
	v_mul_f32_e32 v83, 0x3eb8f4ab, v83
	v_dual_add_f32 v71, v108, v71 :: v_dual_fmamk_f32 v108, v58, 0xbf7ba420, v74
	s_delay_alu instid0(VALU_DEP_3) | instskip(SKIP_2) | instid1(VALU_DEP_4)
	v_dual_add_f32 v25, v25, v27 :: v_dual_add_f32 v20, v24, v20
	v_fmac_f32_e32 v103, 0xbf2c7751, v65
	v_add_f32_e32 v105, v126, v105
	v_add_f32_e32 v71, v108, v71
	v_fmamk_f32 v108, v60, 0xbf59a7d5, v76
	s_delay_alu instid0(VALU_DEP_4) | instskip(NEXT) | instid1(VALU_DEP_4)
	v_dual_add_f32 v20, v20, v22 :: v_dual_add_f32 v9, v9, v103
	v_add_f32_e32 v105, v125, v105
	s_delay_alu instid0(VALU_DEP_3) | instskip(SKIP_1) | instid1(VALU_DEP_1)
	v_add_f32_e32 v71, v108, v71
	v_mul_f32_e32 v108, 0xbf2c7751, v55
	v_dual_sub_f32 v99, v99, v108 :: v_dual_mul_f32 v108, 0x3f6eb680, v53
	s_delay_alu instid0(VALU_DEP_1) | instskip(NEXT) | instid1(VALU_DEP_2)
	v_add_f32_e32 v99, v99, v100
	v_dual_add_f32 v97, v108, v97 :: v_dual_mul_f32 v80, 0x3f65296c, v80
	v_mul_f32_e32 v100, 0x3ee437d1, v56
	v_mul_f32_e32 v108, 0x3dbcf732, v58
	;; [unrolled: 1-line block ×3, first 2 shown]
	s_delay_alu instid0(VALU_DEP_4) | instskip(NEXT) | instid1(VALU_DEP_4)
	v_add_f32_e32 v97, v8, v97
	v_dual_fmamk_f32 v107, v62, 0xbe8c1d8e, v78 :: v_dual_add_f32 v94, v100, v94
	s_delay_alu instid0(VALU_DEP_3) | instskip(NEXT) | instid1(VALU_DEP_3)
	v_dual_mul_f32 v100, 0xbf59a7d5, v64 :: v_dual_add_f32 v85, v95, v85
	v_add_f32_e32 v69, v69, v97
	s_delay_alu instid0(VALU_DEP_3) | instskip(SKIP_1) | instid1(VALU_DEP_4)
	v_add_f32_e32 v71, v107, v71
	v_fmamk_f32 v107, v64, 0x3ee437d1, v80
	v_dual_mul_f32 v97, 0xbf4c4adb, v63 :: v_dual_add_f32 v22, v100, v86
	s_delay_alu instid0(VALU_DEP_4) | instskip(SKIP_1) | instid1(VALU_DEP_4)
	v_add_f32_e32 v94, v94, v69
	v_add_f32_e32 v69, v110, v104
	;; [unrolled: 1-line block ×3, first 2 shown]
	v_dual_mul_f32 v71, 0xbf65296c, v57 :: v_dual_add_f32 v90, v108, v90
	v_mul_f32_e32 v89, 0x3f6eb680, v89
	v_mul_f32_e32 v108, 0xbe3c28d5, v68
	v_dual_fmac_f32 v121, 0x3f3d2fb0, v67 :: v_dual_sub_f32 v26, v88, v97
	s_delay_alu instid0(VALU_DEP_4) | instskip(SKIP_3) | instid1(VALU_DEP_4)
	v_sub_f32_e32 v71, v98, v71
	v_mul_f32_e32 v98, 0xbf7ee86f, v59
	v_add_f32_e32 v90, v90, v94
	v_fmac_f32_e32 v82, 0x3f763a35, v63
	v_add_f32_e32 v71, v71, v99
	s_delay_alu instid0(VALU_DEP_4) | instskip(NEXT) | instid1(VALU_DEP_1)
	v_dual_mul_f32 v99, 0xbf763a35, v61 :: v_dual_sub_f32 v96, v96, v98
	v_dual_mul_f32 v98, 0xbf1a4643, v62 :: v_dual_sub_f32 v93, v93, v99
	s_delay_alu instid0(VALU_DEP_2) | instskip(SKIP_1) | instid1(VALU_DEP_3)
	v_add_f32_e32 v96, v96, v71
	v_mul_f32_e32 v99, 0xbf7ba420, v67
	v_dual_fmamk_f32 v71, v68, 0xbeb8f4ab, v89 :: v_dual_add_f32 v84, v98, v84
	s_delay_alu instid0(VALU_DEP_3)
	v_dual_fmamk_f32 v94, v67, 0x3f6eb680, v83 :: v_dual_add_f32 v93, v93, v96
	v_add_f32_e32 v27, v85, v90
	v_add_f32_e32 v21, v25, v21
	v_sub_f32_e32 v25, v91, v111
	v_dual_fmac_f32 v89, 0x3eb8f4ab, v68 :: v_dual_add_f32 v68, v121, v105
	v_add_f32_e32 v24, v26, v93
	v_add_f32_e32 v26, v84, v27
	v_add_f32_e32 v21, v21, v23
	v_add_f32_e32 v71, v71, v109
	s_delay_alu instid0(VALU_DEP_4) | instskip(NEXT) | instid1(VALU_DEP_3)
	v_add_f32_e32 v23, v25, v24
	v_dual_sub_f32 v24, v92, v108 :: v_dual_add_f32 v21, v21, v17
	v_add_f32_e32 v16, v20, v16
	v_add_f32_e32 v20, v22, v26
	;; [unrolled: 1-line block ×3, first 2 shown]
	s_delay_alu instid0(VALU_DEP_4) | instskip(NEXT) | instid1(VALU_DEP_4)
	v_add_f32_e32 v17, v24, v23
	v_dual_add_f32 v19, v21, v19 :: v_dual_add_f32 v18, v16, v18
	s_delay_alu instid0(VALU_DEP_3) | instskip(SKIP_1) | instid1(VALU_DEP_3)
	v_add_f32_e32 v16, v22, v20
	v_fma_f32 v20, 0x3f3d2fb0, v53, -v106
	v_dual_add_f32 v13, v19, v13 :: v_dual_add_f32 v12, v18, v12
	v_fmac_f32_e32 v73, 0xbf7ee86f, v55
	v_fma_f32 v18, 0x3dbcf732, v54, -v70
	s_delay_alu instid0(VALU_DEP_3) | instskip(NEXT) | instid1(VALU_DEP_3)
	v_dual_add_f32 v8, v8, v20 :: v_dual_add_f32 v13, v13, v15
	v_dual_add_f32 v12, v12, v14 :: v_dual_add_f32 v9, v73, v9
	s_delay_alu instid0(VALU_DEP_2) | instskip(SKIP_1) | instid1(VALU_DEP_3)
	v_dual_fmac_f32 v75, 0xbf4c4adb, v57 :: v_dual_add_f32 v8, v18, v8
	v_fma_f32 v14, 0xbf1a4643, v56, -v72
	v_dual_add_f32 v4, v12, v4 :: v_dual_add_f32 v5, v13, v5
	s_delay_alu instid0(VALU_DEP_3) | instskip(SKIP_1) | instid1(VALU_DEP_4)
	v_add_f32_e32 v9, v75, v9
	v_fma_f32 v12, 0xbf7ba420, v58, -v74
	v_add_f32_e32 v8, v14, v8
	s_delay_alu instid0(VALU_DEP_4) | instskip(SKIP_1) | instid1(VALU_DEP_2)
	v_dual_add_f32 v4, v4, v6 :: v_dual_fmac_f32 v77, 0xbe3c28d5, v59
	v_add_f32_e32 v70, v94, v107
	v_add_f32_e32 v0, v4, v0
	s_delay_alu instid0(VALU_DEP_3) | instskip(NEXT) | instid1(VALU_DEP_2)
	v_add_f32_e32 v6, v77, v9
	v_dual_fmac_f32 v79, 0x3f06c442, v61 :: v_dual_add_f32 v0, v0, v2
	v_add_f32_e32 v5, v5, v7
	s_delay_alu instid0(VALU_DEP_2) | instskip(SKIP_2) | instid1(VALU_DEP_4)
	v_dual_add_f32 v7, v12, v8 :: v_dual_add_f32 v4, v79, v6
	v_fma_f32 v8, 0xbf59a7d5, v60, -v76
	v_fma_f32 v6, 0xbe8c1d8e, v62, -v78
	v_dual_add_f32 v1, v5, v1 :: v_dual_add_f32 v0, v0, v40
	s_delay_alu instid0(VALU_DEP_3) | instskip(SKIP_1) | instid1(VALU_DEP_3)
	v_dual_add_f32 v2, v82, v4 :: v_dual_add_f32 v5, v8, v7
	v_fma_f32 v4, 0x3ee437d1, v64, -v80
	v_add_f32_e32 v1, v1, v3
	s_delay_alu instid0(VALU_DEP_3) | instskip(SKIP_1) | instid1(VALU_DEP_3)
	v_add_f32_e32 v3, v6, v5
	v_fmac_f32_e32 v81, 0x3f65296c, v66
	v_add_f32_e32 v1, v1, v41
	v_fma_f32 v5, 0x3f6eb680, v67, -v83
	v_lshl_add_u32 v6, v34, 7, v46
	v_add_f32_e32 v4, v4, v3
	v_add_f32_e32 v2, v81, v2
	s_delay_alu instid0(VALU_DEP_1) | instskip(NEXT) | instid1(VALU_DEP_3)
	v_add_f32_e32 v3, v89, v2
	v_add_f32_e32 v2, v5, v4
	ds_store_2addr_b64 v6, v[0:1], v[16:17] offset1:1
	ds_store_2addr_b64 v6, v[70:71], v[101:102] offset0:2 offset1:3
	ds_store_2addr_b64 v6, v[68:69], v[117:118] offset0:4 offset1:5
	;; [unrolled: 1-line block ×7, first 2 shown]
	ds_store_b64 v6, v[38:39] offset:128
.LBB0_21:
	s_wait_alu 0xfffe
	s_or_b32 exec_lo, exec_lo, s1
	v_and_b32_e32 v0, 0xff, v34
	v_add_nc_u16 v44, v34, 0x66
	global_wb scope:SCOPE_SE
	s_wait_dscnt 0x0
	s_barrier_signal -1
	s_barrier_wait -1
	v_mul_lo_u16 v20, 0xf1, v0
	global_inv scope:SCOPE_SE
	v_and_b32_e32 v55, 0xff, v44
	v_add_nc_u32_e32 v42, 0x1fe, v34
	v_add_nc_u32_e32 v74, 0x264, v34
	v_lshrrev_b16 v76, 12, v20
	v_add_nc_u32_e32 v94, 0x2400, v46
	v_mul_lo_u16 v73, 0xf1, v55
	v_lshrrev_b16 v95, 13, v20
	v_cmp_gt_u32_e64 s0, 34, v34
	v_mul_lo_u16 v0, v76, 17
	v_and_b32_e32 v76, 0xffff, v76
	v_lshrrev_b16 v77, 12, v73
	v_lshrrev_b16 v73, 13, v73
	v_mul_lo_u16 v96, v95, 34
	v_sub_nc_u16 v0, v34, v0
	v_mul_u32_u24_e32 v76, 0x110, v76
	s_delay_alu instid0(VALU_DEP_4) | instskip(NEXT) | instid1(VALU_DEP_4)
	v_mul_lo_u16 v101, v73, 34
	v_sub_nc_u16 v96, v34, v96
	s_delay_alu instid0(VALU_DEP_4) | instskip(NEXT) | instid1(VALU_DEP_3)
	v_and_b32_e32 v0, 0xff, v0
	v_sub_nc_u16 v101, v44, v101
	s_delay_alu instid0(VALU_DEP_3) | instskip(NEXT) | instid1(VALU_DEP_3)
	v_and_b32_e32 v96, 0xff, v96
	v_lshlrev_b32_e32 v79, 3, v0
	v_and_b32_e32 v0, 0xffff, v42
	global_load_b64 v[40:41], v79, s[8:9]
	v_add_nc_u32_e32 v53, 0xcc, v34
	v_mul_u32_u24_e32 v43, 0xf0f1, v0
	s_delay_alu instid0(VALU_DEP_2) | instskip(NEXT) | instid1(VALU_DEP_2)
	v_and_b32_e32 v1, 0xffff, v53
	v_lshrrev_b32_e32 v86, 20, v43
	v_lshrrev_b32_e32 v100, 21, v43
	s_delay_alu instid0(VALU_DEP_3) | instskip(SKIP_1) | instid1(VALU_DEP_3)
	v_mul_u32_u24_e32 v56, 0xf0f1, v1
	v_mul_lo_u16 v1, v77, 17
	v_mul_lo_u16 v105, v100, 34
	s_delay_alu instid0(VALU_DEP_3) | instskip(NEXT) | instid1(VALU_DEP_3)
	v_lshrrev_b32_e32 v78, 20, v56
	v_sub_nc_u16 v1, v44, v1
	v_lshrrev_b32_e32 v97, 21, v56
	s_delay_alu instid0(VALU_DEP_3) | instskip(NEXT) | instid1(VALU_DEP_3)
	v_mul_lo_u16 v2, v78, 17
	v_and_b32_e32 v1, 0xff, v1
	v_mul_u32_u24_e32 v78, 0x110, v78
	s_delay_alu instid0(VALU_DEP_4) | instskip(NEXT) | instid1(VALU_DEP_4)
	v_mul_lo_u16 v102, v97, 34
	v_sub_nc_u16 v2, v53, v2
	s_delay_alu instid0(VALU_DEP_4) | instskip(SKIP_1) | instid1(VALU_DEP_3)
	v_lshlrev_b32_e32 v80, 3, v1
	v_and_b32_e32 v1, 0xffff, v74
	v_and_b32_e32 v2, 0xffff, v2
	global_load_b64 v[59:60], v80, s[8:9]
	v_mul_u32_u24_e32 v84, 0xf0f1, v1
	v_lshlrev_b32_e32 v81, 3, v2
	s_delay_alu instid0(VALU_DEP_2)
	v_lshrrev_b32_e32 v87, 20, v84
	v_lshrrev_b32_e32 v84, 21, v84
	global_load_b64 v[61:62], v81, s[8:9]
	v_add_nc_u32_e32 v45, 0x132, v34
	v_add3_u32 v78, 0, v78, v81
	v_mul_lo_u16 v106, v84, 34
	s_delay_alu instid0(VALU_DEP_3) | instskip(NEXT) | instid1(VALU_DEP_1)
	v_and_b32_e32 v3, 0xffff, v45
	v_mul_u32_u24_e32 v58, 0xf0f1, v3
	v_mul_lo_u16 v3, v87, 17
	v_mul_u32_u24_e32 v87, 0x110, v87
	s_delay_alu instid0(VALU_DEP_3) | instskip(NEXT) | instid1(VALU_DEP_3)
	v_lshrrev_b32_e32 v82, 20, v58
	v_sub_nc_u16 v3, v74, v3
	v_lshrrev_b32_e32 v98, 21, v58
	s_delay_alu instid0(VALU_DEP_3) | instskip(SKIP_1) | instid1(VALU_DEP_3)
	v_mul_lo_u16 v0, v82, 17
	v_mul_u32_u24_e32 v82, 0x110, v82
	v_mul_lo_u16 v103, v98, 34
	s_delay_alu instid0(VALU_DEP_3) | instskip(NEXT) | instid1(VALU_DEP_1)
	v_sub_nc_u16 v0, v45, v0
	v_and_b32_e32 v0, 0xffff, v0
	s_delay_alu instid0(VALU_DEP_1) | instskip(SKIP_3) | instid1(VALU_DEP_2)
	v_lshlrev_b32_e32 v89, 3, v0
	global_load_b64 v[63:64], v89, s[8:9]
	v_add_nc_u32_e32 v54, 0x198, v34
	v_add_nc_u32_e32 v75, 0x2ca, v34
	v_and_b32_e32 v4, 0xffff, v54
	s_delay_alu instid0(VALU_DEP_2) | instskip(NEXT) | instid1(VALU_DEP_2)
	v_and_b32_e32 v2, 0xffff, v75
	v_mul_u32_u24_e32 v57, 0xf0f1, v4
	s_delay_alu instid0(VALU_DEP_2) | instskip(SKIP_2) | instid1(VALU_DEP_4)
	v_mul_u32_u24_e32 v85, 0xf0f1, v2
	v_mul_lo_u16 v2, v86, 17
	v_mul_u32_u24_e32 v86, 0x110, v86
	v_lshrrev_b32_e32 v83, 20, v57
	s_delay_alu instid0(VALU_DEP_4) | instskip(NEXT) | instid1(VALU_DEP_4)
	v_lshrrev_b32_e32 v88, 20, v85
	v_sub_nc_u16 v2, v42, v2
	v_lshrrev_b32_e32 v85, 21, v85
	v_lshrrev_b32_e32 v99, 21, v57
	v_mul_lo_u16 v1, v83, 17
	v_mul_lo_u16 v4, v88, 17
	v_mul_u32_u24_e32 v83, 0x110, v83
	v_mul_u32_u24_e32 v88, 0x110, v88
	v_mul_lo_u16 v107, v85, 34
	v_sub_nc_u16 v1, v54, v1
	v_sub_nc_u16 v0, v75, v4
	v_mul_lo_u16 v104, v99, 34
	s_delay_alu instid0(VALU_DEP_3) | instskip(NEXT) | instid1(VALU_DEP_3)
	v_and_b32_e32 v1, 0xffff, v1
	v_and_b32_e32 v0, 0xffff, v0
	s_delay_alu instid0(VALU_DEP_2) | instskip(NEXT) | instid1(VALU_DEP_2)
	v_lshlrev_b32_e32 v90, 3, v1
	v_lshlrev_b32_e32 v93, 3, v0
	global_load_b64 v[65:66], v90, s[8:9]
	v_and_b32_e32 v1, 0xffff, v2
	v_and_b32_e32 v2, 0xffff, v3
	v_add3_u32 v81, 0, v83, v90
	s_delay_alu instid0(VALU_DEP_3) | instskip(NEXT) | instid1(VALU_DEP_3)
	v_lshlrev_b32_e32 v91, 3, v1
	v_lshlrev_b32_e32 v92, 3, v2
	s_clause 0x2
	global_load_b64 v[67:68], v91, s[8:9]
	global_load_b64 v[69:70], v92, s[8:9]
	;; [unrolled: 1-line block ×3, first 2 shown]
	ds_load_2addr_b64 v[0:3], v46 offset1:102
	ds_load_2addr_b64 v[4:7], v48 offset0:48 offset1:150
	ds_load_2addr_b64 v[8:11], v35 offset0:76 offset1:178
	;; [unrolled: 1-line block ×7, first 2 shown]
	v_and_b32_e32 v77, 0xffff, v77
	global_wb scope:SCOPE_SE
	s_wait_loadcnt_dscnt 0x0
	s_barrier_signal -1
	s_barrier_wait -1
	global_inv scope:SCOPE_SE
	v_mul_u32_u24_e32 v77, 0x110, v77
	v_mul_f32_e32 v90, v25, v70
	v_mul_f32_e32 v70, v24, v70
	v_add3_u32 v83, 0, v86, v91
	v_mul_f32_e32 v91, v27, v72
	v_add3_u32 v86, 0, v87, v92
	v_mul_f32_e32 v72, v26, v72
	v_sub_nc_u16 v74, v74, v106
	s_delay_alu instid0(VALU_DEP_4)
	v_dual_fmac_f32 v90, v24, v69 :: v_dual_fmac_f32 v91, v26, v71
	v_add3_u32 v77, 0, v77, v80
	v_add3_u32 v80, 0, v82, v89
	v_mul_f32_e32 v82, v41, v5
	v_mul_f32_e32 v41, v41, v4
	;; [unrolled: 1-line block ×4, first 2 shown]
	v_sub_nc_u16 v105, v42, v105
	v_fmac_f32_e32 v82, v40, v4
	v_fma_f32 v5, v40, v5, -v41
	v_mul_f32_e32 v40, v60, v7
	v_dual_mul_f32 v4, v60, v6 :: v_dual_mul_f32 v41, v62, v13
	v_mul_f32_e32 v60, v62, v12
	v_mul_f32_e32 v62, v64, v15
	;; [unrolled: 1-line block ×3, first 2 shown]
	v_fmac_f32_e32 v40, v59, v6
	v_add3_u32 v87, 0, v88, v93
	v_mul_f32_e32 v88, v29, v66
	v_fmac_f32_e32 v62, v63, v14
	v_mul_f32_e32 v66, v28, v66
	v_sub_nc_u16 v103, v45, v103
	v_fma_f32 v7, v59, v7, -v4
	v_sub_nc_u16 v75, v75, v107
	v_fmac_f32_e32 v41, v61, v12
	v_fma_f32 v13, v61, v13, -v60
	v_dual_sub_f32 v4, v0, v82 :: v_dual_and_b32 v101, 0xff, v101
	v_fma_f32 v15, v63, v15, -v64
	v_fmac_f32_e32 v88, v28, v65
	v_fma_f32 v28, v29, v65, -v66
	v_and_b32_e32 v103, 0xffff, v103
	v_fmac_f32_e32 v89, v30, v67
	v_fma_f32 v29, v31, v67, -v68
	v_sub_f32_e32 v5, v1, v5
	v_fma_f32 v30, v25, v69, -v70
	v_fma_f32 v31, v27, v71, -v72
	v_dual_sub_f32 v6, v2, v40 :: v_dual_and_b32 v105, 0xffff, v105
	v_sub_f32_e32 v7, v3, v7
	v_dual_sub_f32 v12, v8, v41 :: v_dual_and_b32 v75, 0xffff, v75
	v_sub_f32_e32 v13, v9, v13
	v_add3_u32 v76, 0, v76, v79
	v_dual_sub_f32 v14, v10, v62 :: v_dual_lshlrev_b32 v79, 3, v101
	v_dual_sub_f32 v15, v11, v15 :: v_dual_sub_f32 v24, v16, v88
	v_sub_f32_e32 v25, v17, v28
	v_fma_f32 v0, v0, 2.0, -v4
	v_fma_f32 v1, v1, 2.0, -v5
	v_sub_f32_e32 v26, v18, v89
	v_dual_sub_f32 v27, v19, v29 :: v_dual_sub_f32 v28, v20, v90
	v_dual_sub_f32 v29, v21, v30 :: v_dual_sub_f32 v30, v22, v91
	v_sub_f32_e32 v31, v23, v31
	v_fma_f32 v2, v2, 2.0, -v6
	v_fma_f32 v3, v3, 2.0, -v7
	;; [unrolled: 1-line block ×14, first 2 shown]
	ds_store_2addr_b64 v76, v[0:1], v[4:5] offset1:17
	ds_store_2addr_b64 v77, v[2:3], v[6:7] offset1:17
	;; [unrolled: 1-line block ×8, first 2 shown]
	v_lshlrev_b32_e32 v8, 3, v103
	global_wb scope:SCOPE_SE
	s_wait_dscnt 0x0
	s_barrier_signal -1
	s_barrier_wait -1
	global_inv scope:SCOPE_SE
	global_load_b64 v[63:64], v8, s[8:9] offset:136
	v_sub_nc_u16 v102, v53, v102
	v_lshlrev_b32_e32 v96, 3, v96
	v_sub_nc_u16 v104, v54, v104
	global_load_b64 v[30:31], v79, s[8:9] offset:136
	v_lshlrev_b32_e32 v13, 3, v75
	v_and_b32_e32 v0, 0xffff, v95
	global_load_b64 v[28:29], v96, s[8:9] offset:136
	v_and_b32_e32 v102, 0xffff, v102
	v_and_b32_e32 v104, 0xffff, v104
	v_mul_u32_u24_e32 v5, 0x220, v97
	v_mul_u32_u24_e32 v4, 0x220, v0
	v_and_b32_e32 v0, 0xffff, v73
	v_lshlrev_b32_e32 v101, 3, v102
	v_lshlrev_b32_e32 v9, 3, v104
	v_mul_u32_u24_e32 v11, 0x220, v98
	v_add3_u32 v73, 0, v4, v96
	v_mul_u32_u24_e32 v6, 0x220, v0
	global_load_b64 v[40:41], v101, s[8:9] offset:136
	v_and_b32_e32 v74, 0xffff, v74
	global_load_b64 v[65:66], v9, s[8:9] offset:136
	v_lshlrev_b32_e32 v10, 3, v105
	v_add3_u32 v75, 0, v6, v79
	v_add3_u32 v76, 0, v5, v101
	v_lshlrev_b32_e32 v12, 3, v74
	s_clause 0x2
	global_load_b64 v[67:68], v10, s[8:9] offset:136
	global_load_b64 v[69:70], v12, s[8:9] offset:136
	;; [unrolled: 1-line block ×3, first 2 shown]
	ds_load_2addr_b64 v[4:7], v52 offset0:124 offset1:226
	v_mul_u32_u24_e32 v14, 0x220, v99
	v_mul_u32_u24_e32 v15, 0x220, v100
	v_add3_u32 v52, 0, v11, v8
	v_mul_u32_u24_e32 v16, 0x220, v84
	v_mul_u32_u24_e32 v17, 0x220, v85
	v_add3_u32 v77, 0, v14, v9
	ds_load_2addr_b64 v[0:3], v48 offset0:48 offset1:150
	v_add3_u32 v80, 0, v17, v13
	s_wait_loadcnt_dscnt 0x701
	v_mul_f32_e32 v83, v64, v7
	s_wait_loadcnt_dscnt 0x600
	v_mul_f32_e32 v81, v31, v3
	s_delay_alu instid0(VALU_DEP_2) | instskip(SKIP_4) | instid1(VALU_DEP_2)
	v_fmac_f32_e32 v83, v63, v6
	v_add3_u32 v78, 0, v15, v10
	ds_load_2addr_b64 v[8:11], v94 offset0:72 offset1:174
	v_mul_f32_e32 v31, v31, v2
	v_fmac_f32_e32 v81, v30, v2
	v_fma_f32 v3, v30, v3, -v31
	s_wait_loadcnt 0x4
	v_mul_f32_e32 v82, v41, v5
	v_mul_f32_e32 v41, v41, v4
	s_delay_alu instid0(VALU_DEP_1) | instskip(SKIP_2) | instid1(VALU_DEP_1)
	v_fma_f32 v5, v40, v5, -v41
	s_wait_loadcnt_dscnt 0x200
	v_mul_f32_e32 v85, v11, v68
	v_fmac_f32_e32 v85, v10, v67
	v_add3_u32 v79, 0, v16, v12
	ds_load_2addr_b64 v[12:15], v46 offset1:102
	ds_load_2addr_b64 v[16:19], v47 offset0:148 offset1:250
	ds_load_2addr_b64 v[20:23], v35 offset0:76 offset1:178
	;; [unrolled: 1-line block ×4, first 2 shown]
	v_dual_mul_f32 v64, v64, v6 :: v_dual_mul_f32 v51, v29, v1
	v_mul_f32_e32 v29, v29, v0
	v_mul_f32_e32 v68, v10, v68
	global_wb scope:SCOPE_SE
	s_wait_loadcnt_dscnt 0x0
	s_barrier_signal -1
	v_fmac_f32_e32 v51, v28, v0
	v_fma_f32 v1, v28, v1, -v29
	v_fma_f32 v11, v11, v67, -v68
	s_barrier_wait -1
	global_inv scope:SCOPE_SE
	v_sub_f32_e32 v0, v12, v51
	v_mul_f32_e32 v86, v17, v70
	v_dual_mul_f32 v70, v16, v70 :: v_dual_mul_f32 v87, v19, v72
	v_dual_mul_f32 v72, v18, v72 :: v_dual_sub_f32 v5, v21, v5
	v_fma_f32 v7, v63, v7, -v64
	v_mul_f32_e32 v84, v9, v66
	v_mul_f32_e32 v66, v8, v66
	v_fma_f32 v17, v17, v69, -v70
	v_dual_fmac_f32 v87, v18, v71 :: v_dual_add_nc_u32 v74, 0xc00, v46
	v_fma_f32 v18, v19, v71, -v72
	v_fmac_f32_e32 v82, v40, v4
	v_fma_f32 v9, v9, v65, -v66
	v_dual_sub_f32 v7, v23, v7 :: v_dual_fmac_f32 v84, v8, v65
	s_delay_alu instid0(VALU_DEP_4)
	v_sub_f32_e32 v29, v62, v18
	v_sub_f32_e32 v17, v60, v17
	v_fmac_f32_e32 v86, v16, v69
	v_sub_f32_e32 v1, v13, v1
	v_dual_sub_f32 v2, v14, v81 :: v_dual_sub_f32 v3, v15, v3
	v_sub_f32_e32 v4, v20, v82
	v_sub_f32_e32 v6, v22, v83
	v_dual_sub_f32 v8, v24, v84 :: v_dual_sub_f32 v9, v25, v9
	v_dual_sub_f32 v10, v26, v85 :: v_dual_sub_f32 v11, v27, v11
	v_sub_f32_e32 v16, v59, v86
	v_sub_f32_e32 v28, v61, v87
	v_fma_f32 v12, v12, 2.0, -v0
	v_fma_f32 v13, v13, 2.0, -v1
	;; [unrolled: 1-line block ×16, first 2 shown]
	ds_store_2addr_b64 v73, v[12:13], v[0:1] offset1:34
	ds_store_2addr_b64 v75, v[14:15], v[2:3] offset1:34
	;; [unrolled: 1-line block ×8, first 2 shown]
	global_wb scope:SCOPE_SE
	s_wait_dscnt 0x0
	s_barrier_signal -1
	s_barrier_wait -1
	global_inv scope:SCOPE_SE
	ds_load_2addr_b64 v[4:7], v46 offset1:102
	ds_load_2addr_b64 v[0:3], v74 offset0:24 offset1:160
	ds_load_2addr_b64 v[12:15], v50 offset0:64 offset1:166
	;; [unrolled: 1-line block ×6, first 2 shown]
	ds_load_b64 v[40:41], v46 offset:11968
                                        ; implicit-def: $vgpr31
	s_and_saveexec_b32 s1, s0
	s_cbranch_execz .LBB0_23
; %bb.22:
	ds_load_b64 v[28:29], v46 offset:4080
	ds_load_b64 v[38:39], v46 offset:8432
	;; [unrolled: 1-line block ×3, first 2 shown]
.LBB0_23:
	s_wait_alu 0xfffe
	s_or_b32 exec_lo, exec_lo, s1
	v_lshrrev_b32_e32 v35, 22, v56
	v_mul_lo_u16 v49, 0x79, v55
	v_lshrrev_b32_e32 v68, 22, v57
	v_lshrrev_b32_e32 v67, 22, v58
	v_dual_mov_b32 v48, 0 :: v_dual_add_nc_u32 v47, 0xffffffbc, v34
	v_mul_lo_u16 v50, 0x44, v35
	v_cmp_gt_u32_e64 s1, 0x44, v34
	v_lshrrev_b16 v69, 13, v49
	v_mul_lo_u16 v51, 0x44, v67
	v_mul_u32_u24_e32 v35, 0x660, v35
	v_sub_nc_u16 v49, v53, v50
	v_mul_lo_u16 v50, 0x44, v68
	s_wait_alu 0xf1ff
	v_cndmask_b32_e64 v70, v47, v34, s1
	v_sub_nc_u16 v45, v45, v51
	v_mul_u32_u24_e32 v67, 0x660, v67
	v_and_b32_e32 v71, 0xffff, v49
	v_mul_lo_u16 v49, 0x44, v69
	v_sub_nc_u16 v50, v54, v50
	v_lshlrev_b32_e32 v47, 1, v70
	v_and_b32_e32 v72, 0xffff, v45
	v_lshlrev_b32_e32 v51, 4, v71
	v_sub_nc_u16 v52, v44, v49
	v_and_b32_e32 v73, 0xffff, v50
	v_lshlrev_b64_e32 v[44:45], 3, v[47:48]
	v_lshlrev_b32_e32 v53, 4, v72
	global_load_b128 v[47:50], v51, s[8:9] offset:408
	v_and_b32_e32 v74, 0xff, v52
	v_lshlrev_b32_e32 v55, 4, v73
	v_mul_u32_u24_e32 v68, 0x660, v68
	v_add_co_u32 v44, s1, s8, v44
	s_wait_alu 0xf1ff
	v_add_co_ci_u32_e64 v45, s1, s9, v45, s1
	global_load_b128 v[55:58], v55, s[8:9] offset:408
	v_lshlrev_b32_e32 v63, 4, v74
	s_clause 0x2
	global_load_b128 v[51:54], v53, s[8:9] offset:408
	global_load_b128 v[59:62], v[44:45], off offset:408
	global_load_b128 v[63:66], v63, s[8:9] offset:408
	v_cmp_lt_u32_e64 s1, 0x43, v34
	v_lshlrev_b32_e32 v45, 3, v70
	v_and_b32_e32 v69, 0xffff, v69
	v_lshlrev_b32_e32 v70, 3, v72
	global_wb scope:SCOPE_SE
	s_wait_loadcnt_dscnt 0x0
	s_wait_alu 0xf1ff
	v_cndmask_b32_e64 v44, 0, 0x660, s1
	s_barrier_signal -1
	s_barrier_wait -1
	global_inv scope:SCOPE_SE
	v_dual_mul_f32 v75, v60, v3 :: v_dual_mul_f32 v76, v62, v13
	v_add3_u32 v44, 0, v44, v45
	v_lshlrev_b32_e32 v45, 3, v71
	v_dual_mul_f32 v60, v60, v2 :: v_dual_lshlrev_b32 v71, 3, v73
	v_mul_f32_e32 v73, v27, v56
	v_mul_f32_e32 v56, v26, v56
	s_delay_alu instid0(VALU_DEP_4)
	v_add3_u32 v35, 0, v35, v45
	v_add3_u32 v45, 0, v67, v70
	;; [unrolled: 1-line block ×3, first 2 shown]
	v_dual_mul_f32 v71, v52, v25 :: v_dual_lshlrev_b32 v72, 3, v74
	v_mul_f32_e32 v74, v41, v58
	v_mul_u32_u24_e32 v69, 0x660, v69
	v_mul_f32_e32 v70, v50, v21
	v_mul_f32_e32 v50, v50, v20
	;; [unrolled: 1-line block ×3, first 2 shown]
	v_dual_mul_f32 v62, v62, v12 :: v_dual_mul_f32 v77, v64, v17
	v_add3_u32 v68, 0, v69, v72
	v_mul_f32_e32 v69, v48, v19
	v_mul_f32_e32 v48, v48, v18
	v_mul_f32_e32 v72, v23, v54
	v_mul_f32_e32 v54, v22, v54
	s_delay_alu instid0(VALU_DEP_4)
	v_dual_mul_f32 v64, v64, v16 :: v_dual_fmac_f32 v69, v47, v18
	v_mul_f32_e32 v58, v40, v58
	v_dual_mul_f32 v78, v66, v15 :: v_dual_fmac_f32 v71, v51, v24
	v_dual_mul_f32 v66, v66, v14 :: v_dual_fmac_f32 v77, v63, v16
	v_fma_f32 v18, v47, v19, -v48
	v_dual_fmac_f32 v70, v49, v20 :: v_dual_fmac_f32 v73, v26, v55
	v_fma_f32 v19, v49, v21, -v50
	v_fma_f32 v20, v51, v25, -v52
	v_dual_fmac_f32 v72, v22, v53 :: v_dual_fmac_f32 v75, v59, v2
	v_fma_f32 v21, v23, v53, -v54
	v_fma_f32 v22, v27, v55, -v56
	v_fmac_f32_e32 v74, v40, v57
	v_fma_f32 v2, v59, v3, -v60
	v_fmac_f32_e32 v76, v61, v12
	v_fma_f32 v24, v61, v13, -v62
	v_fma_f32 v3, v63, v17, -v64
	;; [unrolled: 1-line block ×3, first 2 shown]
	v_dual_fmac_f32 v78, v65, v14 :: v_dual_add_f32 v17, v71, v72
	v_fma_f32 v25, v65, v15, -v66
	v_dual_add_f32 v13, v69, v70 :: v_dual_sub_f32 v26, v18, v19
	v_dual_sub_f32 v41, v71, v72 :: v_dual_add_f32 v14, v9, v18
	v_add_f32_e32 v47, v0, v73
	v_dual_add_f32 v15, v18, v19 :: v_dual_sub_f32 v40, v20, v21
	v_dual_sub_f32 v49, v22, v23 :: v_dual_add_f32 v18, v11, v20
	v_dual_add_f32 v55, v5, v2 :: v_dual_add_f32 v20, v20, v21
	v_dual_add_f32 v53, v75, v76 :: v_dual_add_f32 v48, v73, v74
	v_dual_sub_f32 v57, v75, v76 :: v_dual_add_f32 v50, v1, v22
	v_dual_add_f32 v61, v7, v3 :: v_dual_add_f32 v56, v2, v24
	v_dual_add_f32 v12, v8, v69 :: v_dual_sub_f32 v27, v69, v70
	v_dual_add_f32 v16, v10, v71 :: v_dual_sub_f32 v51, v73, v74
	v_dual_add_f32 v22, v22, v23 :: v_dual_add_f32 v59, v77, v78
	v_add_f32_e32 v62, v3, v25
	v_dual_add_f32 v52, v4, v75 :: v_dual_sub_f32 v63, v77, v78
	s_delay_alu instid0(VALU_DEP_3)
	v_dual_sub_f32 v54, v2, v24 :: v_dual_fmac_f32 v1, -0.5, v22
	v_dual_sub_f32 v60, v3, v25 :: v_dual_add_f32 v3, v14, v19
	v_fma_f32 v8, -0.5, v13, v8
	v_fma_f32 v9, -0.5, v15, v9
	;; [unrolled: 1-line block ×4, first 2 shown]
	v_add_f32_e32 v19, v61, v25
	v_fma_f32 v5, -0.5, v56, v5
	v_fma_f32 v10, -0.5, v17, v10
	v_dual_add_f32 v58, v6, v77 :: v_dual_fmac_f32 v11, -0.5, v20
	v_dual_add_f32 v2, v12, v70 :: v_dual_add_f32 v13, v18, v21
	v_dual_add_f32 v15, v50, v23 :: v_dual_add_f32 v12, v16, v72
	v_fmac_f32_e32 v7, -0.5, v62
	v_fma_f32 v6, -0.5, v59, v6
	v_add_f32_e32 v14, v47, v74
	v_dual_add_f32 v16, v52, v76 :: v_dual_fmamk_f32 v21, v27, 0x3f5db3d7, v9
	v_dual_add_f32 v17, v55, v24 :: v_dual_add_f32 v18, v58, v78
	v_fmamk_f32 v20, v26, 0xbf5db3d7, v8
	v_dual_fmac_f32 v8, 0x3f5db3d7, v26 :: v_dual_fmamk_f32 v23, v41, 0x3f5db3d7, v11
	v_dual_fmac_f32 v9, 0xbf5db3d7, v27 :: v_dual_fmamk_f32 v24, v49, 0xbf5db3d7, v0
	v_dual_fmac_f32 v0, 0x3f5db3d7, v49 :: v_dual_fmamk_f32 v27, v57, 0x3f5db3d7, v5
	v_fmamk_f32 v26, v54, 0xbf5db3d7, v4
	v_dual_fmamk_f32 v22, v40, 0xbf5db3d7, v10 :: v_dual_fmac_f32 v5, 0xbf5db3d7, v57
	v_fmac_f32_e32 v4, 0x3f5db3d7, v54
	v_dual_fmac_f32 v10, 0x3f5db3d7, v40 :: v_dual_fmamk_f32 v25, v51, 0x3f5db3d7, v1
	v_dual_fmac_f32 v11, 0xbf5db3d7, v41 :: v_dual_fmamk_f32 v40, v60, 0xbf5db3d7, v6
	v_dual_fmamk_f32 v41, v63, 0x3f5db3d7, v7 :: v_dual_fmac_f32 v6, 0x3f5db3d7, v60
	v_fmac_f32_e32 v7, 0xbf5db3d7, v63
	v_fmac_f32_e32 v1, 0xbf5db3d7, v51
	ds_store_2addr_b64 v44, v[16:17], v[26:27] offset1:68
	ds_store_b64 v44, v[4:5] offset:1088
	ds_store_2addr_b64 v68, v[18:19], v[40:41] offset1:68
	ds_store_b64 v68, v[6:7] offset:1088
	;; [unrolled: 2-line block ×5, first 2 shown]
	s_and_saveexec_b32 s1, s0
	s_cbranch_execz .LBB0_25
; %bb.24:
	v_lshrrev_b32_e32 v0, 22, v43
	s_delay_alu instid0(VALU_DEP_1) | instskip(NEXT) | instid1(VALU_DEP_1)
	v_mul_lo_u16 v0, 0x44, v0
	v_sub_nc_u16 v0, v42, v0
	s_delay_alu instid0(VALU_DEP_1) | instskip(NEXT) | instid1(VALU_DEP_1)
	v_and_b32_e32 v4, 0xffff, v0
	v_lshlrev_b32_e32 v0, 4, v4
	global_load_b128 v[0:3], v0, s[8:9] offset:408
	s_wait_loadcnt 0x0
	v_mul_f32_e32 v5, v38, v1
	v_dual_mul_f32 v1, v39, v1 :: v_dual_mul_f32 v6, v30, v3
	v_lshl_add_u32 v8, v4, 3, 0
	v_mul_f32_e32 v7, v31, v3
	s_delay_alu instid0(VALU_DEP_4) | instskip(NEXT) | instid1(VALU_DEP_4)
	v_fma_f32 v3, v39, v0, -v5
	v_fma_f32 v4, v31, v2, -v6
	s_delay_alu instid0(VALU_DEP_3) | instskip(NEXT) | instid1(VALU_DEP_3)
	v_dual_fmac_f32 v7, v30, v2 :: v_dual_add_nc_u32 v6, 0x2800, v8
	v_add_f32_e32 v5, v29, v3
	s_delay_alu instid0(VALU_DEP_3) | instskip(SKIP_1) | instid1(VALU_DEP_1)
	v_sub_f32_e32 v11, v3, v4
	v_fmac_f32_e32 v1, v38, v0
	v_dual_add_f32 v0, v3, v4 :: v_dual_sub_f32 v9, v1, v7
	v_add_f32_e32 v10, v28, v1
	v_add_f32_e32 v2, v1, v7
	s_delay_alu instid0(VALU_DEP_3) | instskip(SKIP_1) | instid1(VALU_DEP_2)
	v_fma_f32 v1, -0.5, v0, v29
	v_add_f32_e32 v3, v5, v4
	v_fmamk_f32 v5, v9, 0xbf5db3d7, v1
	v_fmac_f32_e32 v1, 0x3f5db3d7, v9
	v_fma_f32 v0, -0.5, v2, v28
	v_add_f32_e32 v2, v10, v7
	s_delay_alu instid0(VALU_DEP_2)
	v_fmamk_f32 v4, v11, 0x3f5db3d7, v0
	v_fmac_f32_e32 v0, 0xbf5db3d7, v11
	ds_store_2addr_b64 v6, v[2:3], v[0:1] offset0:148 offset1:216
	ds_store_b64 v8, v[4:5] offset:12512
.LBB0_25:
	s_wait_alu 0xfffe
	s_or_b32 exec_lo, exec_lo, s1
	v_mul_u32_u24_e32 v0, 7, v34
	global_wb scope:SCOPE_SE
	s_wait_dscnt 0x0
	s_barrier_signal -1
	s_barrier_wait -1
	global_inv scope:SCOPE_SE
	v_lshlrev_b32_e32 v24, 3, v0
	s_clause 0x7
	global_load_b128 v[0:3], v24, s[8:9] offset:1496
	global_load_b128 v[4:7], v24, s[8:9] offset:1512
	;; [unrolled: 1-line block ×3, first 2 shown]
	global_load_b64 v[63:64], v24, s[8:9] offset:1544
	global_load_b128 v[12:15], v24, s[8:9] offset:7208
	global_load_b128 v[16:19], v24, s[8:9] offset:7224
	global_load_b128 v[20:23], v24, s[8:9] offset:7240
	global_load_b64 v[65:66], v24, s[8:9] offset:7256
	v_add_nc_u32_e32 v69, 0x1800, v46
	v_add_nc_u32_e32 v71, 0x2400, v46
	ds_load_2addr_b64 v[42:45], v69 offset0:48 offset1:150
	s_wait_loadcnt_dscnt 0x600
	v_dual_mul_f32 v76, v7, v43 :: v_dual_add_nc_u32 v67, 0x800, v46
	ds_load_2addr_b64 v[28:31], v67 offset0:152 offset1:254
	v_add_nc_u32_e32 v35, 0x400, v46
	v_add_nc_u32_e32 v70, 0x1c00, v46
	v_fmac_f32_e32 v76, v6, v42
	s_wait_dscnt 0x0
	v_mul_f32_e32 v74, v3, v29
	v_mul_f32_e32 v3, v3, v28
	ds_load_2addr_b64 v[24:27], v35 offset0:76 offset1:178
	s_wait_loadcnt 0x3
	v_dual_mul_f32 v81, v31, v15 :: v_dual_add_nc_u32 v68, 0x1000, v46
	s_wait_dscnt 0x0
	v_dual_fmac_f32 v74, v2, v28 :: v_dual_mul_f32 v73, v1, v25
	v_mul_f32_e32 v1, v1, v24
	ds_load_2addr_b64 v[38:41], v68 offset0:100 offset1:202
	v_add_nc_u32_e32 v72, 0x2800, v46
	v_mul_f32_e32 v7, v7, v42
	v_mul_f32_e32 v80, v27, v13
	s_delay_alu instid0(VALU_DEP_1)
	v_fmac_f32_e32 v80, v26, v12
	s_wait_loadcnt_dscnt 0x200
	v_mul_f32_e32 v82, v41, v17
	v_mul_f32_e32 v75, v5, v39
	ds_load_2addr_b64 v[47:50], v70 offset0:124 offset1:226
	ds_load_2addr_b64 v[51:54], v71 offset0:72 offset1:174
	ds_load_2addr_b64 v[55:58], v72 offset0:148 offset1:250
	ds_load_2addr_b64 v[59:62], v46 offset1:102
	v_mul_f32_e32 v5, v5, v38
	v_mul_f32_e32 v83, v45, v19
	;; [unrolled: 1-line block ×3, first 2 shown]
	v_fmac_f32_e32 v73, v0, v24
	v_fma_f32 v0, v0, v25, -v1
	v_fma_f32 v1, v2, v29, -v3
	;; [unrolled: 1-line block ×3, first 2 shown]
	v_dual_mul_f32 v15, v30, v15 :: v_dual_fmac_f32 v82, v40, v16
	v_fma_f32 v3, v6, v43, -v7
	global_wb scope:SCOPE_SE
	s_wait_loadcnt_dscnt 0x0
	s_barrier_signal -1
	s_barrier_wait -1
	global_inv scope:SCOPE_SE
	v_mul_f32_e32 v84, v50, v21
	v_mul_f32_e32 v78, v52, v11
	;; [unrolled: 1-line block ×4, first 2 shown]
	s_delay_alu instid0(VALU_DEP_4)
	v_dual_mul_f32 v19, v44, v19 :: v_dual_fmac_f32 v84, v49, v20
	v_dual_mul_f32 v77, v48, v9 :: v_dual_mul_f32 v86, v58, v66
	v_dual_mul_f32 v9, v47, v9 :: v_dual_mul_f32 v66, v57, v66
	;; [unrolled: 1-line block ×3, first 2 shown]
	v_fmac_f32_e32 v78, v51, v10
	v_fma_f32 v5, v52, v10, -v11
	v_fma_f32 v10, v45, v18, -v19
	v_dual_mul_f32 v85, v54, v23 :: v_dual_fmac_f32 v86, v57, v65
	v_fmac_f32_e32 v77, v47, v8
	v_fma_f32 v6, v56, v63, -v64
	s_delay_alu instid0(VALU_DEP_4)
	v_dual_sub_f32 v10, v62, v10 :: v_dual_mul_f32 v23, v53, v23
	v_fmac_f32_e32 v75, v4, v38
	v_fma_f32 v4, v48, v8, -v9
	v_mul_f32_e32 v21, v49, v21
	v_fma_f32 v7, v27, v12, -v13
	v_fma_f32 v9, v41, v16, -v17
	;; [unrolled: 1-line block ×3, first 2 shown]
	v_dual_sub_f32 v4, v0, v4 :: v_dual_fmac_f32 v81, v30, v14
	v_fma_f32 v8, v31, v14, -v15
	v_fma_f32 v11, v50, v20, -v21
	v_sub_f32_e32 v20, v80, v84
	v_dual_sub_f32 v14, v59, v76 :: v_dual_sub_f32 v3, v60, v3
	v_sub_f32_e32 v6, v2, v6
	v_fma_f32 v12, v54, v22, -v23
	v_sub_f32_e32 v13, v9, v13
	v_sub_f32_e32 v15, v74, v78
	v_fmac_f32_e32 v83, v44, v18
	s_delay_alu instid0(VALU_DEP_4)
	v_dual_fmac_f32 v79, v55, v63 :: v_dual_sub_f32 v12, v8, v12
	v_fma_f32 v26, v0, 2.0, -v4
	v_fma_f32 v2, v2, 2.0, -v6
	v_sub_f32_e32 v28, v3, v15
	v_sub_f32_e32 v18, v61, v83
	;; [unrolled: 1-line block ×3, first 2 shown]
	v_fmac_f32_e32 v85, v53, v22
	v_fma_f32 v24, v74, 2.0, -v15
	v_sub_f32_e32 v41, v26, v2
	s_delay_alu instid0(VALU_DEP_4)
	v_dual_add_f32 v38, v18, v12 :: v_dual_add_f32 v15, v16, v6
	v_fma_f32 v6, v8, 2.0, -v12
	v_dual_add_f32 v12, v20, v13 :: v_dual_sub_f32 v11, v7, v11
	v_fma_f32 v9, v9, 2.0, -v13
	v_sub_f32_e32 v5, v1, v5
	v_fma_f32 v30, v62, 2.0, -v10
	s_delay_alu instid0(VALU_DEP_4) | instskip(SKIP_2) | instid1(VALU_DEP_4)
	v_fmamk_f32 v2, v12, 0x3f3504f3, v38
	v_fma_f32 v31, v7, 2.0, -v11
	v_sub_f32_e32 v21, v82, v86
	v_dual_sub_f32 v17, v75, v79 :: v_dual_sub_f32 v44, v30, v6
	v_fma_f32 v8, v80, 2.0, -v20
	v_fma_f32 v22, v59, 2.0, -v14
	s_delay_alu instid0(VALU_DEP_4)
	v_fma_f32 v7, v82, 2.0, -v21
	v_sub_f32_e32 v19, v81, v85
	v_fma_f32 v1, v1, 2.0, -v5
	v_fma_f32 v25, v73, 2.0, -v16
	;; [unrolled: 1-line block ×5, first 2 shown]
	v_sub_f32_e32 v18, v8, v7
	v_fma_f32 v20, v20, 2.0, -v12
	v_add_f32_e32 v27, v14, v5
	v_fma_f32 v5, v81, 2.0, -v19
	v_sub_f32_e32 v39, v10, v19
	v_sub_f32_e32 v19, v22, v24
	s_delay_alu instid0(VALU_DEP_4)
	v_fma_f32 v24, v14, 2.0, -v27
	v_sub_f32_e32 v14, v25, v0
	v_fma_f32 v23, v60, 2.0, -v3
	v_sub_f32_e32 v43, v29, v5
	;; [unrolled: 2-line block ×3, first 2 shown]
	v_sub_f32_e32 v17, v4, v17
	v_fma_f32 v49, v22, 2.0, -v19
	v_fma_f32 v22, v25, 2.0, -v14
	v_sub_f32_e32 v13, v11, v21
	v_sub_f32_e32 v21, v23, v1
	v_add_f32_e32 v6, v19, v41
	v_fma_f32 v25, v29, 2.0, -v43
	v_fma_f32 v29, v8, 2.0, -v18
	v_fmamk_f32 v8, v20, 0xbf3504f3, v45
	v_fmamk_f32 v0, v15, 0x3f3504f3, v27
	v_fma_f32 v40, v3, 2.0, -v28
	v_fma_f32 v16, v16, 2.0, -v15
	;; [unrolled: 1-line block ×6, first 2 shown]
	v_add_f32_e32 v10, v43, v10
	v_dual_fmac_f32 v0, 0x3f3504f3, v17 :: v_dual_fmamk_f32 v3, v13, 0x3f3504f3, v39
	v_fma_f32 v42, v4, 2.0, -v17
	v_fmamk_f32 v4, v16, 0xbf3504f3, v24
	v_fmamk_f32 v1, v17, 0x3f3504f3, v28
	s_delay_alu instid0(VALU_DEP_4) | instskip(NEXT) | instid1(VALU_DEP_3)
	v_dual_fmac_f32 v3, 0xbf3504f3, v12 :: v_dual_sub_f32 v12, v49, v22
	v_fmac_f32_e32 v4, 0x3f3504f3, v42
	v_fma_f32 v48, v11, 2.0, -v13
	v_fmamk_f32 v5, v42, 0xbf3504f3, v40
	v_sub_f32_e32 v7, v21, v14
	v_sub_f32_e32 v11, v44, v18
	v_fmac_f32_e32 v1, 0xbf3504f3, v15
	v_fmamk_f32 v9, v48, 0xbf3504f3, v47
	v_dual_fmac_f32 v2, 0x3f3504f3, v13 :: v_dual_sub_f32 v13, v50, v23
	v_fma_f32 v14, v19, 2.0, -v6
	v_dual_sub_f32 v18, v25, v29 :: v_dual_sub_f32 v19, v26, v30
	v_fmac_f32_e32 v5, 0xbf3504f3, v16
	v_fma_f32 v15, v21, 2.0, -v7
	v_fmac_f32_e32 v8, 0x3f3504f3, v48
	v_fmac_f32_e32 v9, 0xbf3504f3, v20
	v_fma_f32 v20, v43, 2.0, -v10
	v_fma_f32 v21, v44, 2.0, -v11
	;; [unrolled: 1-line block ×6, first 2 shown]
	ds_store_2addr_b64 v71, v[6:7], v[10:11] offset0:72 offset1:174
	ds_store_2addr_b64 v72, v[0:1], v[2:3] offset0:148 offset1:250
	v_fma_f32 v0, v49, 2.0, -v12
	v_fma_f32 v1, v50, 2.0, -v13
	;; [unrolled: 1-line block ×8, first 2 shown]
	ds_store_2addr_b64 v67, v[14:15], v[20:21] offset0:152 offset1:254
	ds_store_2addr_b64 v68, v[16:17], v[22:23] offset0:100 offset1:202
	ds_store_2addr_b64 v69, v[12:13], v[18:19] offset0:48 offset1:150
	ds_store_2addr_b64 v70, v[4:5], v[8:9] offset0:124 offset1:226
	ds_store_2addr_b64 v46, v[0:1], v[6:7] offset1:102
	ds_store_2addr_b64 v35, v[2:3], v[10:11] offset0:76 offset1:178
	global_wb scope:SCOPE_SE
	s_wait_dscnt 0x0
	s_barrier_signal -1
	s_barrier_wait -1
	global_inv scope:SCOPE_SE
	s_and_saveexec_b32 s0, vcc_lo
	s_cbranch_execz .LBB0_27
; %bb.26:
	v_mul_lo_u32 v0, s3, v36
	v_mul_lo_u32 v1, s2, v37
	v_mad_co_u64_u32 v[4:5], null, s2, v36, 0
	v_dual_mov_b32 v35, 0 :: v_dual_add_nc_u32 v8, 0x66, v34
	v_lshl_add_u32 v28, v34, 3, 0
	v_lshlrev_b64_e32 v[6:7], 3, v[32:33]
	s_delay_alu instid0(VALU_DEP_3) | instskip(SKIP_1) | instid1(VALU_DEP_4)
	v_dual_mov_b32 v9, v35 :: v_dual_add_nc_u32 v10, 0xcc, v34
	v_add3_u32 v5, v5, v1, v0
	v_dual_mov_b32 v11, v35 :: v_dual_add_nc_u32 v14, 0x400, v28
	ds_load_2addr_b64 v[0:3], v28 offset1:102
	v_lshlrev_b64_e32 v[12:13], 3, v[34:35]
	v_lshlrev_b64_e32 v[4:5], 3, v[4:5]
	;; [unrolled: 1-line block ×4, first 2 shown]
	v_dual_mov_b32 v17, v35 :: v_dual_add_nc_u32 v16, 0x198, v34
	v_add_nc_u32_e32 v18, 0x800, v28
	v_add_co_u32 v4, vcc_lo, s6, v4
	s_wait_alu 0xfffd
	v_add_co_ci_u32_e32 v5, vcc_lo, s7, v5, vcc_lo
	v_add_nc_u32_e32 v20, 0x1800, v28
	s_delay_alu instid0(VALU_DEP_3) | instskip(SKIP_1) | instid1(VALU_DEP_3)
	v_add_co_u32 v32, vcc_lo, v4, v6
	s_wait_alu 0xfffd
	v_add_co_ci_u32_e32 v33, vcc_lo, v5, v7, vcc_lo
	ds_load_2addr_b64 v[4:7], v14 offset0:76 offset1:178
	v_dual_mov_b32 v15, v35 :: v_dual_add_nc_u32 v14, 0x132, v34
	v_add_co_u32 v12, vcc_lo, v32, v12
	s_wait_alu 0xfffd
	v_add_co_ci_u32_e32 v13, vcc_lo, v33, v13, vcc_lo
	v_add_co_u32 v8, vcc_lo, v32, v8
	v_lshlrev_b64_e32 v[14:15], 3, v[14:15]
	s_wait_alu 0xfffd
	v_add_co_ci_u32_e32 v9, vcc_lo, v33, v9, vcc_lo
	v_add_co_u32 v10, vcc_lo, v32, v10
	s_wait_alu 0xfffd
	v_add_co_ci_u32_e32 v11, vcc_lo, v33, v11, vcc_lo
	v_add_co_u32 v14, vcc_lo, v32, v14
	s_wait_alu 0xfffd
	v_add_co_ci_u32_e32 v15, vcc_lo, v33, v15, vcc_lo
	s_wait_dscnt 0x1
	s_clause 0x1
	global_store_b64 v[12:13], v[0:1], off
	global_store_b64 v[8:9], v[2:3], off
	s_wait_dscnt 0x0
	s_clause 0x1
	global_store_b64 v[10:11], v[4:5], off
	global_store_b64 v[14:15], v[6:7], off
	v_lshlrev_b64_e32 v[4:5], 3, v[16:17]
	v_dual_mov_b32 v9, v35 :: v_dual_add_nc_u32 v6, 0x1fe, v34
	v_dual_mov_b32 v7, v35 :: v_dual_add_nc_u32 v14, 0x1000, v28
	v_mov_b32_e32 v19, v35
	ds_load_2addr_b64 v[0:3], v18 offset0:152 offset1:254
	v_add_co_u32 v10, vcc_lo, v32, v4
	v_dual_mov_b32 v15, v35 :: v_dual_add_nc_u32 v8, 0x264, v34
	s_wait_alu 0xfffd
	v_add_co_ci_u32_e32 v11, vcc_lo, v33, v5, vcc_lo
	v_lshlrev_b64_e32 v[12:13], 3, v[6:7]
	ds_load_2addr_b64 v[4:7], v14 offset0:100 offset1:202
	v_add_nc_u32_e32 v14, 0x2ca, v34
	v_lshlrev_b64_e32 v[8:9], 3, v[8:9]
	v_add_nc_u32_e32 v16, 0x330, v34
	v_add_nc_u32_e32 v18, 0x396, v34
	v_add_co_u32 v12, vcc_lo, v32, v12
	v_lshlrev_b64_e32 v[14:15], 3, v[14:15]
	s_wait_alu 0xfffd
	v_add_co_ci_u32_e32 v13, vcc_lo, v33, v13, vcc_lo
	v_add_co_u32 v8, vcc_lo, v32, v8
	s_wait_alu 0xfffd
	v_add_co_ci_u32_e32 v9, vcc_lo, v33, v9, vcc_lo
	v_add_co_u32 v14, vcc_lo, v32, v14
	s_wait_alu 0xfffd
	v_add_co_ci_u32_e32 v15, vcc_lo, v33, v15, vcc_lo
	s_wait_dscnt 0x1
	s_clause 0x1
	global_store_b64 v[10:11], v[0:1], off
	global_store_b64 v[12:13], v[2:3], off
	s_wait_dscnt 0x0
	s_clause 0x1
	global_store_b64 v[8:9], v[4:5], off
	global_store_b64 v[14:15], v[6:7], off
	v_mov_b32_e32 v15, v35
	v_mov_b32_e32 v11, v35
	v_lshlrev_b64_e32 v[4:5], 3, v[16:17]
	v_dual_mov_b32 v27, v35 :: v_dual_add_nc_u32 v8, 0x3fc, v34
	v_mov_b32_e32 v9, v35
	v_lshlrev_b64_e32 v[6:7], 3, v[18:19]
	v_add_nc_u32_e32 v10, 0x462, v34
	v_add_co_u32 v16, vcc_lo, v32, v4
	s_delay_alu instid0(VALU_DEP_4)
	v_lshlrev_b64_e32 v[8:9], 3, v[8:9]
	s_wait_alu 0xfffd
	v_add_co_ci_u32_e32 v17, vcc_lo, v33, v5, vcc_lo
	v_add_co_u32 v18, vcc_lo, v32, v6
	s_wait_alu 0xfffd
	v_add_co_ci_u32_e32 v19, vcc_lo, v33, v7, vcc_lo
	v_dual_mov_b32 v13, v35 :: v_dual_add_nc_u32 v12, 0x4c8, v34
	ds_load_2addr_b64 v[0:3], v20 offset0:48 offset1:150
	v_add_co_u32 v20, vcc_lo, v32, v8
	s_wait_alu 0xfffd
	v_add_co_ci_u32_e32 v21, vcc_lo, v33, v9, vcc_lo
	v_lshlrev_b64_e32 v[8:9], 3, v[10:11]
	v_add_nc_u32_e32 v14, 0x52e, v34
	v_add_nc_u32_e32 v4, 0x1c00, v28
	v_lshlrev_b64_e32 v[12:13], 3, v[12:13]
	v_add_nc_u32_e32 v10, 0x2400, v28
	v_add_nc_u32_e32 v26, 0x594, v34
	v_add_co_u32 v22, vcc_lo, v32, v8
	v_lshlrev_b64_e32 v[24:25], 3, v[14:15]
	v_add_nc_u32_e32 v14, 0x2800, v28
	ds_load_2addr_b64 v[4:7], v4 offset0:124 offset1:226
	s_wait_alu 0xfffd
	v_add_co_ci_u32_e32 v23, vcc_lo, v33, v9, vcc_lo
	ds_load_2addr_b64 v[8:11], v10 offset0:72 offset1:174
	v_add_co_u32 v28, vcc_lo, v32, v12
	s_wait_alu 0xfffd
	v_add_co_ci_u32_e32 v29, vcc_lo, v33, v13, vcc_lo
	ds_load_2addr_b64 v[12:15], v14 offset0:148 offset1:250
	v_add_nc_u32_e32 v34, 0x5fa, v34
	v_lshlrev_b64_e32 v[26:27], 3, v[26:27]
	v_add_co_u32 v24, vcc_lo, v32, v24
	s_wait_alu 0xfffd
	v_add_co_ci_u32_e32 v25, vcc_lo, v33, v25, vcc_lo
	v_lshlrev_b64_e32 v[30:31], 3, v[34:35]
	s_delay_alu instid0(VALU_DEP_4) | instskip(SKIP_2) | instid1(VALU_DEP_3)
	v_add_co_u32 v26, vcc_lo, v32, v26
	s_wait_alu 0xfffd
	v_add_co_ci_u32_e32 v27, vcc_lo, v33, v27, vcc_lo
	v_add_co_u32 v30, vcc_lo, v32, v30
	s_wait_alu 0xfffd
	v_add_co_ci_u32_e32 v31, vcc_lo, v33, v31, vcc_lo
	s_wait_dscnt 0x3
	s_clause 0x1
	global_store_b64 v[16:17], v[0:1], off
	global_store_b64 v[18:19], v[2:3], off
	s_wait_dscnt 0x2
	s_clause 0x1
	global_store_b64 v[20:21], v[4:5], off
	global_store_b64 v[22:23], v[6:7], off
	;; [unrolled: 4-line block ×4, first 2 shown]
.LBB0_27:
	s_nop 0
	s_sendmsg sendmsg(MSG_DEALLOC_VGPRS)
	s_endpgm
	.section	.rodata,"a",@progbits
	.p2align	6, 0x0
	.amdhsa_kernel fft_rtc_back_len1632_factors_17_2_2_3_8_wgs_102_tpt_102_halfLds_sp_op_CI_CI_unitstride_sbrr_C2R_dirReg
		.amdhsa_group_segment_fixed_size 0
		.amdhsa_private_segment_fixed_size 0
		.amdhsa_kernarg_size 104
		.amdhsa_user_sgpr_count 2
		.amdhsa_user_sgpr_dispatch_ptr 0
		.amdhsa_user_sgpr_queue_ptr 0
		.amdhsa_user_sgpr_kernarg_segment_ptr 1
		.amdhsa_user_sgpr_dispatch_id 0
		.amdhsa_user_sgpr_private_segment_size 0
		.amdhsa_wavefront_size32 1
		.amdhsa_uses_dynamic_stack 0
		.amdhsa_enable_private_segment 0
		.amdhsa_system_sgpr_workgroup_id_x 1
		.amdhsa_system_sgpr_workgroup_id_y 0
		.amdhsa_system_sgpr_workgroup_id_z 0
		.amdhsa_system_sgpr_workgroup_info 0
		.amdhsa_system_vgpr_workitem_id 0
		.amdhsa_next_free_vgpr 203
		.amdhsa_next_free_sgpr 39
		.amdhsa_reserve_vcc 1
		.amdhsa_float_round_mode_32 0
		.amdhsa_float_round_mode_16_64 0
		.amdhsa_float_denorm_mode_32 3
		.amdhsa_float_denorm_mode_16_64 3
		.amdhsa_fp16_overflow 0
		.amdhsa_workgroup_processor_mode 1
		.amdhsa_memory_ordered 1
		.amdhsa_forward_progress 0
		.amdhsa_round_robin_scheduling 0
		.amdhsa_exception_fp_ieee_invalid_op 0
		.amdhsa_exception_fp_denorm_src 0
		.amdhsa_exception_fp_ieee_div_zero 0
		.amdhsa_exception_fp_ieee_overflow 0
		.amdhsa_exception_fp_ieee_underflow 0
		.amdhsa_exception_fp_ieee_inexact 0
		.amdhsa_exception_int_div_zero 0
	.end_amdhsa_kernel
	.text
.Lfunc_end0:
	.size	fft_rtc_back_len1632_factors_17_2_2_3_8_wgs_102_tpt_102_halfLds_sp_op_CI_CI_unitstride_sbrr_C2R_dirReg, .Lfunc_end0-fft_rtc_back_len1632_factors_17_2_2_3_8_wgs_102_tpt_102_halfLds_sp_op_CI_CI_unitstride_sbrr_C2R_dirReg
                                        ; -- End function
	.section	.AMDGPU.csdata,"",@progbits
; Kernel info:
; codeLenInByte = 15044
; NumSgprs: 41
; NumVgprs: 203
; ScratchSize: 0
; MemoryBound: 0
; FloatMode: 240
; IeeeMode: 1
; LDSByteSize: 0 bytes/workgroup (compile time only)
; SGPRBlocks: 5
; VGPRBlocks: 25
; NumSGPRsForWavesPerEU: 41
; NumVGPRsForWavesPerEU: 203
; Occupancy: 7
; WaveLimiterHint : 1
; COMPUTE_PGM_RSRC2:SCRATCH_EN: 0
; COMPUTE_PGM_RSRC2:USER_SGPR: 2
; COMPUTE_PGM_RSRC2:TRAP_HANDLER: 0
; COMPUTE_PGM_RSRC2:TGID_X_EN: 1
; COMPUTE_PGM_RSRC2:TGID_Y_EN: 0
; COMPUTE_PGM_RSRC2:TGID_Z_EN: 0
; COMPUTE_PGM_RSRC2:TIDIG_COMP_CNT: 0
	.text
	.p2alignl 7, 3214868480
	.fill 96, 4, 3214868480
	.type	__hip_cuid_107ab6b2e75f0124,@object ; @__hip_cuid_107ab6b2e75f0124
	.section	.bss,"aw",@nobits
	.globl	__hip_cuid_107ab6b2e75f0124
__hip_cuid_107ab6b2e75f0124:
	.byte	0                               ; 0x0
	.size	__hip_cuid_107ab6b2e75f0124, 1

	.ident	"AMD clang version 19.0.0git (https://github.com/RadeonOpenCompute/llvm-project roc-6.4.0 25133 c7fe45cf4b819c5991fe208aaa96edf142730f1d)"
	.section	".note.GNU-stack","",@progbits
	.addrsig
	.addrsig_sym __hip_cuid_107ab6b2e75f0124
	.amdgpu_metadata
---
amdhsa.kernels:
  - .args:
      - .actual_access:  read_only
        .address_space:  global
        .offset:         0
        .size:           8
        .value_kind:     global_buffer
      - .offset:         8
        .size:           8
        .value_kind:     by_value
      - .actual_access:  read_only
        .address_space:  global
        .offset:         16
        .size:           8
        .value_kind:     global_buffer
      - .actual_access:  read_only
        .address_space:  global
        .offset:         24
        .size:           8
        .value_kind:     global_buffer
      - .actual_access:  read_only
        .address_space:  global
        .offset:         32
        .size:           8
        .value_kind:     global_buffer
      - .offset:         40
        .size:           8
        .value_kind:     by_value
      - .actual_access:  read_only
        .address_space:  global
        .offset:         48
        .size:           8
        .value_kind:     global_buffer
      - .actual_access:  read_only
        .address_space:  global
        .offset:         56
        .size:           8
        .value_kind:     global_buffer
      - .offset:         64
        .size:           4
        .value_kind:     by_value
      - .actual_access:  read_only
        .address_space:  global
        .offset:         72
        .size:           8
        .value_kind:     global_buffer
      - .actual_access:  read_only
        .address_space:  global
        .offset:         80
        .size:           8
        .value_kind:     global_buffer
      - .actual_access:  read_only
        .address_space:  global
        .offset:         88
        .size:           8
        .value_kind:     global_buffer
      - .actual_access:  write_only
        .address_space:  global
        .offset:         96
        .size:           8
        .value_kind:     global_buffer
    .group_segment_fixed_size: 0
    .kernarg_segment_align: 8
    .kernarg_segment_size: 104
    .language:       OpenCL C
    .language_version:
      - 2
      - 0
    .max_flat_workgroup_size: 102
    .name:           fft_rtc_back_len1632_factors_17_2_2_3_8_wgs_102_tpt_102_halfLds_sp_op_CI_CI_unitstride_sbrr_C2R_dirReg
    .private_segment_fixed_size: 0
    .sgpr_count:     41
    .sgpr_spill_count: 0
    .symbol:         fft_rtc_back_len1632_factors_17_2_2_3_8_wgs_102_tpt_102_halfLds_sp_op_CI_CI_unitstride_sbrr_C2R_dirReg.kd
    .uniform_work_group_size: 1
    .uses_dynamic_stack: false
    .vgpr_count:     203
    .vgpr_spill_count: 0
    .wavefront_size: 32
    .workgroup_processor_mode: 1
amdhsa.target:   amdgcn-amd-amdhsa--gfx1201
amdhsa.version:
  - 1
  - 2
...

	.end_amdgpu_metadata
